;; amdgpu-corpus repo=zjin-lcf/HeCBench kind=compiled arch=gfx950 opt=O3
	.amdgcn_target "amdgcn-amd-amdhsa--gfx950"
	.amdhsa_code_object_version 6
	.section	.text._Z13gqsort_kernelIjEvPT_S1_P12block_recordIS0_EP13parent_recordP11work_recordIS0_E,"axG",@progbits,_Z13gqsort_kernelIjEvPT_S1_P12block_recordIS0_EP13parent_recordP11work_recordIS0_E,comdat
	.protected	_Z13gqsort_kernelIjEvPT_S1_P12block_recordIS0_EP13parent_recordP11work_recordIS0_E ; -- Begin function _Z13gqsort_kernelIjEvPT_S1_P12block_recordIS0_EP13parent_recordP11work_recordIS0_E
	.globl	_Z13gqsort_kernelIjEvPT_S1_P12block_recordIS0_EP13parent_recordP11work_recordIS0_E
	.p2align	8
	.type	_Z13gqsort_kernelIjEvPT_S1_P12block_recordIS0_EP13parent_recordP11work_recordIS0_E,@function
_Z13gqsort_kernelIjEvPT_S1_P12block_recordIS0_EP13parent_recordP11work_recordIS0_E: ; @_Z13gqsort_kernelIjEvPT_S1_P12block_recordIS0_EP13parent_recordP11work_recordIS0_E
; %bb.0:
	s_load_dwordx8 s[20:27], s[0:1], 0x0
	s_mul_i32 s4, s2, 20
	s_mul_hi_u32 s3, s2, 20
	v_lshlrev_b32_e32 v1, 2, v0
	v_mov_b32_e32 v3, 0
	s_waitcnt lgkmcnt(0)
	s_add_u32 s4, s24, s4
	s_addc_u32 s5, s25, s3
	s_load_dwordx4 s[28:31], s[4:5], 0x0
	s_load_dword s3, s[4:5], 0x10
	v_add_u32_e32 v8, 0x210, v1
	v_mov_b32_e32 v6, 0
	ds_write2_b32 v1, v3, v3 offset1:132
	s_waitcnt lgkmcnt(0)
	s_cmp_eq_u32 s31, 1
	s_cselect_b64 s[24:25], -1, 0
	s_and_b64 s[4:5], s[24:25], exec
	v_add_u32_e32 v2, s28, v0
	s_cselect_b32 s19, s21, s23
	s_cselect_b32 s18, s20, s22
	v_cmp_gt_u32_e32 vcc, s29, v2
	s_barrier
	s_and_saveexec_b64 s[6:7], vcc
	s_cbranch_execz .LBB0_12
; %bb.1:
	v_add_u32_e32 v3, 0x80, v2
	v_max_u32_e32 v7, s29, v3
	v_xad_u32 v3, v0, -1, v7
	v_subrev_u32_e32 v5, s28, v3
	s_movk_i32 s4, 0x880
	v_cmp_gt_u32_e64 s[8:9], s4, v5
	s_movk_i32 s4, 0x87f
	v_cmp_lt_u32_e64 s[4:5], s4, v5
	v_mov_b32_e32 v3, 0
	v_mov_b32_e32 v6, 0
	;; [unrolled: 1-line block ×3, first 2 shown]
	s_and_saveexec_b64 s[10:11], s[4:5]
	s_cbranch_execz .LBB0_7
; %bb.2:
	v_sub_u32_e32 v3, v0, v7
	v_add_u32_e32 v3, s28, v3
	v_or_b32_e32 v3, 0x7f, v3
	v_cmp_ge_u32_e64 s[4:5], v3, v2
	s_mov_b64 s[14:15], -1
	v_mov_b32_e32 v3, 0
	v_mov_b32_e32 v6, 0
	v_mov_b32_e32 v4, v2
	s_and_saveexec_b64 s[12:13], s[4:5]
	s_cbranch_execz .LBB0_6
; %bb.3:
	v_lshrrev_b32_e32 v3, 7, v5
	v_add_u32_e32 v9, 1, v3
	v_and_b32_e32 v10, 0x3fffffe, v9
	v_add_u32_e32 v3, 0x80, v2
	s_mov_b32 s16, s30
	s_mov_b32 s17, s30
	v_mov_b32_e32 v5, 0
	s_mov_b64 s[14:15], 0
	v_mov_b32_e32 v13, v10
	v_mov_b64_e32 v[6:7], v[2:3]
	v_mov_b32_e32 v3, 0
	v_mov_b32_e32 v11, 0
	;; [unrolled: 1-line block ×4, first 2 shown]
.LBB0_4:                                ; =>This Inner Loop Header: Depth=1
	v_mov_b32_e32 v4, v6
	v_lshl_add_u64 v[16:17], v[4:5], 2, s[18:19]
	global_load_dword v15, v[16:17], off
	v_mov_b32_e32 v4, v7
	v_lshl_add_u64 v[16:17], v[4:5], 2, s[18:19]
	global_load_dword v4, v[16:17], off
	v_add_u32_e32 v13, -2, v13
	v_cmp_eq_u32_e64 s[4:5], 0, v13
	s_or_b64 s[14:15], s[4:5], s[14:15]
	v_add_u32_e32 v6, 0x100, v6
	v_add_u32_e32 v7, 0x100, v7
	s_waitcnt vmcnt(1)
	v_cmp_gt_u32_e64 s[4:5], s16, v15
	s_nop 1
	v_addc_co_u32_e64 v3, s[4:5], 0, v3, s[4:5]
	v_cmp_lt_u32_e64 s[4:5], s16, v15
	s_nop 1
	v_addc_co_u32_e64 v12, s[4:5], 0, v12, s[4:5]
	s_waitcnt vmcnt(0)
	v_cmp_gt_u32_e64 s[4:5], s17, v4
	s_nop 1
	v_addc_co_u32_e64 v11, s[4:5], 0, v11, s[4:5]
	v_cmp_lt_u32_e64 s[4:5], s17, v4
	s_nop 1
	v_addc_co_u32_e64 v14, s[4:5], 0, v14, s[4:5]
	s_andn2_b64 exec, exec, s[14:15]
	s_cbranch_execnz .LBB0_4
; %bb.5:
	s_or_b64 exec, exec, s[14:15]
	v_cmp_ne_u32_e64 s[4:5], v9, v10
	v_lshl_add_u32 v4, v10, 7, v2
	v_add_u32_e32 v6, v3, v11
	v_add_u32_e32 v3, v12, v14
	s_orn2_b64 s[14:15], s[4:5], exec
.LBB0_6:
	s_or_b64 exec, exec, s[12:13]
	s_andn2_b64 s[4:5], s[8:9], exec
	s_and_b64 s[8:9], s[14:15], exec
	s_or_b64 s[8:9], s[4:5], s[8:9]
.LBB0_7:
	s_or_b64 exec, exec, s[10:11]
	s_and_saveexec_b64 s[10:11], s[8:9]
	s_cbranch_execz .LBB0_11
; %bb.8:
	s_mov_b64 s[8:9], 0
	v_mov_b32_e32 v5, 0
.LBB0_9:                                ; =>This Inner Loop Header: Depth=1
	v_lshl_add_u64 v[10:11], v[4:5], 2, s[18:19]
	global_load_dword v7, v[10:11], off
	v_add_u32_e32 v4, 0x80, v4
	v_cmp_le_u32_e64 s[4:5], s29, v4
	s_or_b64 s[8:9], s[4:5], s[8:9]
	s_waitcnt vmcnt(0)
	v_cmp_gt_u32_e64 s[4:5], s30, v7
	s_nop 1
	v_addc_co_u32_e64 v6, s[4:5], 0, v6, s[4:5]
	v_cmp_lt_u32_e64 s[4:5], s30, v7
	s_nop 1
	v_addc_co_u32_e64 v3, s[4:5], 0, v3, s[4:5]
	s_andn2_b64 exec, exec, s[8:9]
	s_cbranch_execnz .LBB0_9
; %bb.10:
	s_or_b64 exec, exec, s[8:9]
.LBB0_11:
	s_or_b64 exec, exec, s[10:11]
.LBB0_12:
	s_or_b64 exec, exec, s[6:7]
	ds_write_b32 v8, v6
	ds_write_b32 v1, v3
	v_and_b32_e32 v3, 1, v0
	v_cmp_eq_u32_e64 s[16:17], 1, v3
	v_add_u32_e32 v3, -4, v8
	v_add_u32_e32 v4, -4, v1
	s_waitcnt lgkmcnt(0)
	s_barrier
	s_and_saveexec_b64 s[4:5], s[16:17]
	s_cbranch_execz .LBB0_14
; %bb.13:
	ds_read2_b32 v[6:7], v3 offset1:1
	ds_read2_b32 v[10:11], v4 offset1:1
	s_waitcnt lgkmcnt(1)
	v_add_u32_e32 v5, v7, v6
	s_waitcnt lgkmcnt(0)
	v_add_u32_e32 v6, v11, v10
	ds_write_b32 v8, v5
	ds_write_b32 v1, v6
.LBB0_14:
	s_or_b64 exec, exec, s[4:5]
	v_and_b32_e32 v5, 3, v0
	v_cmp_eq_u32_e64 s[4:5], 3, v5
	v_add_u32_e32 v6, -8, v8
	v_add_u32_e32 v5, -8, v1
	s_waitcnt lgkmcnt(0)
	s_barrier
	s_and_saveexec_b64 s[6:7], s[4:5]
	s_cbranch_execz .LBB0_16
; %bb.15:
	ds_read_b32 v7, v6
	ds_read_b32 v9, v5
	;; [unrolled: 1-line block ×4, first 2 shown]
	s_waitcnt lgkmcnt(1)
	v_add_u32_e32 v7, v10, v7
	s_waitcnt lgkmcnt(0)
	v_add_u32_e32 v9, v11, v9
	ds_write_b32 v8, v7
	ds_write_b32 v1, v9
.LBB0_16:
	s_or_b64 exec, exec, s[6:7]
	v_and_b32_e32 v7, 7, v0
	v_cmp_eq_u32_e64 s[6:7], 7, v7
	v_add_u32_e32 v9, -16, v8
	v_add_u32_e32 v7, -16, v1
	s_waitcnt lgkmcnt(0)
	s_barrier
	s_and_saveexec_b64 s[8:9], s[6:7]
	s_cbranch_execz .LBB0_18
; %bb.17:
	ds_read_b32 v10, v9
	ds_read_b32 v11, v7
	;; [unrolled: 1-line block ×4, first 2 shown]
	s_waitcnt lgkmcnt(1)
	v_add_u32_e32 v10, v12, v10
	s_waitcnt lgkmcnt(0)
	v_add_u32_e32 v11, v13, v11
	ds_write_b32 v8, v10
	ds_write_b32 v1, v11
.LBB0_18:
	s_or_b64 exec, exec, s[8:9]
	v_and_b32_e32 v10, 15, v0
	v_cmp_eq_u32_e64 s[8:9], 15, v10
	v_subrev_u32_e32 v11, 32, v8
	v_subrev_u32_e32 v10, 32, v1
	s_waitcnt lgkmcnt(0)
	s_barrier
	s_and_saveexec_b64 s[10:11], s[8:9]
	s_cbranch_execz .LBB0_20
; %bb.19:
	ds_read_b32 v12, v11
	ds_read_b32 v13, v10
	ds_read_b32 v14, v8
	ds_read_b32 v15, v1
	s_waitcnt lgkmcnt(1)
	v_add_u32_e32 v12, v14, v12
	s_waitcnt lgkmcnt(0)
	v_add_u32_e32 v13, v15, v13
	ds_write_b32 v8, v12
	ds_write_b32 v1, v13
.LBB0_20:
	s_or_b64 exec, exec, s[10:11]
	v_and_b32_e32 v12, 31, v0
	v_cmp_eq_u32_e64 s[10:11], 31, v12
	v_subrev_u32_e32 v13, 64, v8
	v_subrev_u32_e32 v12, 64, v1
	s_waitcnt lgkmcnt(0)
	s_barrier
	s_and_saveexec_b64 s[12:13], s[10:11]
	s_cbranch_execz .LBB0_22
; %bb.21:
	ds_read_b32 v14, v13
	ds_read_b32 v15, v12
	ds_read_b32 v16, v8
	ds_read_b32 v17, v1
	s_waitcnt lgkmcnt(1)
	v_add_u32_e32 v14, v16, v14
	s_waitcnt lgkmcnt(0)
	v_add_u32_e32 v15, v17, v15
	ds_write_b32 v8, v14
	ds_write_b32 v1, v15
.LBB0_22:
	s_or_b64 exec, exec, s[12:13]
	v_and_b32_e32 v14, 63, v0
	v_cmp_eq_u32_e64 s[12:13], 63, v14
	s_waitcnt lgkmcnt(0)
	s_barrier
	s_and_saveexec_b64 s[14:15], s[12:13]
	s_cbranch_execz .LBB0_24
; %bb.23:
	v_add_u32_e32 v14, 0xffffff80, v8
	v_add_u32_e32 v15, 0xffffff80, v1
	ds_read_b32 v14, v14
	ds_read_b32 v15, v15
	ds_read_b32 v16, v8
	ds_read_b32 v17, v1
	s_waitcnt lgkmcnt(1)
	v_add_u32_e32 v14, v16, v14
	ds_write_b32 v8, v14
	s_waitcnt lgkmcnt(1)
	v_add_u32_e32 v14, v17, v15
	ds_write_b32 v1, v14
.LBB0_24:
	s_or_b64 exec, exec, s[14:15]
	s_movk_i32 s14, 0x7f
	v_and_b32_e32 v14, 0x7f, v0
	v_cmp_eq_u32_e64 s[14:15], s14, v14
	s_waitcnt lgkmcnt(0)
	s_barrier
	s_and_saveexec_b64 s[34:35], s[14:15]
	s_cbranch_execz .LBB0_26
; %bb.25:
	v_add_u32_e32 v14, 0xffffff00, v8
	v_add_u32_e32 v15, 0xffffff00, v1
	ds_read_b32 v14, v14
	ds_read_b32 v15, v15
	;; [unrolled: 1-line block ×4, first 2 shown]
	s_waitcnt lgkmcnt(1)
	v_add_u32_e32 v14, v16, v14
	ds_write_b32 v8, v14
	s_waitcnt lgkmcnt(1)
	v_add_u32_e32 v14, v17, v15
	ds_write_b32 v1, v14
.LBB0_26:
	s_or_b64 exec, exec, s[34:35]
	s_waitcnt lgkmcnt(0)
	s_barrier
	s_and_saveexec_b64 s[34:35], s[14:15]
	s_cbranch_execz .LBB0_28
; %bb.27:
	ds_read_b32 v14, v8
	ds_read_b32 v16, v1
	v_mov_b32_e32 v17, 0
	s_waitcnt lgkmcnt(1)
	v_mov_b32_e32 v15, v14
	s_waitcnt lgkmcnt(0)
	ds_write2_b32 v17, v16, v16 offset0:128 offset1:131
	ds_write_b64 v17, v[14:15] offset:1040
	ds_write_b32 v8, v17
	ds_write_b32 v1, v17
.LBB0_28:
	s_or_b64 exec, exec, s[34:35]
	s_and_saveexec_b64 s[34:35], s[14:15]
	s_cbranch_execz .LBB0_30
; %bb.29:
	v_add_u32_e32 v15, 0xffffff00, v1
	v_add_u32_e32 v14, 0xffffff00, v8
	ds_read_b32 v16, v15
	ds_read_b32 v17, v8
	;; [unrolled: 1-line block ×4, first 2 shown]
	s_waitcnt lgkmcnt(2)
	ds_write_b32 v14, v17
	s_waitcnt lgkmcnt(2)
	v_add_u32_e32 v14, v17, v18
	ds_write_b32 v8, v14
	s_waitcnt lgkmcnt(2)
	ds_write_b32 v15, v19
	v_add_u32_e32 v14, v19, v16
	ds_write_b32 v1, v14
.LBB0_30:
	s_or_b64 exec, exec, s[34:35]
	s_waitcnt lgkmcnt(0)
	s_barrier
	s_and_saveexec_b64 s[14:15], s[12:13]
	s_cbranch_execz .LBB0_32
; %bb.31:
	v_add_u32_e32 v15, 0xffffff80, v1
	v_add_u32_e32 v14, 0xffffff80, v8
	ds_read_b32 v16, v15
	ds_read_b32 v17, v8
	;; [unrolled: 1-line block ×4, first 2 shown]
	s_waitcnt lgkmcnt(2)
	ds_write_b32 v14, v17
	s_waitcnt lgkmcnt(2)
	v_add_u32_e32 v14, v17, v18
	ds_write_b32 v8, v14
	s_waitcnt lgkmcnt(2)
	ds_write_b32 v15, v19
	v_add_u32_e32 v14, v19, v16
	ds_write_b32 v1, v14
.LBB0_32:
	s_or_b64 exec, exec, s[14:15]
	s_waitcnt lgkmcnt(0)
	s_barrier
	s_and_saveexec_b64 s[12:13], s[10:11]
	s_cbranch_execz .LBB0_34
; %bb.33:
	ds_read_b32 v14, v12
	ds_read_b32 v15, v8
	ds_read_b32 v16, v13
	ds_read_b32 v17, v1
	s_waitcnt lgkmcnt(2)
	ds_write_b32 v13, v15
	s_waitcnt lgkmcnt(2)
	v_add_u32_e32 v13, v15, v16
	ds_write_b32 v8, v13
	s_waitcnt lgkmcnt(2)
	ds_write_b32 v12, v17
	v_add_u32_e32 v12, v17, v14
	ds_write_b32 v1, v12
.LBB0_34:
	s_or_b64 exec, exec, s[12:13]
	s_waitcnt lgkmcnt(0)
	s_barrier
	s_and_saveexec_b64 s[10:11], s[8:9]
	s_cbranch_execz .LBB0_36
; %bb.35:
	ds_read_b32 v12, v10
	ds_read_b32 v13, v8
	ds_read_b32 v14, v11
	ds_read_b32 v15, v1
	s_waitcnt lgkmcnt(2)
	ds_write_b32 v11, v13
	s_waitcnt lgkmcnt(2)
	v_add_u32_e32 v11, v13, v14
	ds_write_b32 v8, v11
	s_waitcnt lgkmcnt(2)
	ds_write_b32 v10, v15
	v_add_u32_e32 v10, v15, v12
	ds_write_b32 v1, v10
.LBB0_36:
	s_or_b64 exec, exec, s[10:11]
	s_waitcnt lgkmcnt(0)
	s_barrier
	s_and_saveexec_b64 s[8:9], s[6:7]
	s_cbranch_execz .LBB0_38
; %bb.37:
	ds_read_b32 v10, v7
	ds_read_b32 v11, v8
	ds_read_b32 v12, v9
	ds_read_b32 v13, v1
	s_waitcnt lgkmcnt(2)
	ds_write_b32 v9, v11
	s_waitcnt lgkmcnt(2)
	v_add_u32_e32 v9, v11, v12
	ds_write_b32 v8, v9
	s_waitcnt lgkmcnt(2)
	ds_write_b32 v7, v13
	v_add_u32_e32 v7, v13, v10
	ds_write_b32 v1, v7
.LBB0_38:
	s_or_b64 exec, exec, s[8:9]
	s_load_dwordx2 s[6:7], s[0:1], 0x20
	s_waitcnt lgkmcnt(0)
	s_barrier
	s_and_saveexec_b64 s[0:1], s[4:5]
	s_cbranch_execz .LBB0_40
; %bb.39:
	ds_read_b32 v7, v5
	ds_read_b32 v9, v8
	;; [unrolled: 1-line block ×4, first 2 shown]
	s_waitcnt lgkmcnt(2)
	ds_write_b32 v6, v9
	s_waitcnt lgkmcnt(2)
	v_add_u32_e32 v6, v9, v10
	ds_write_b32 v8, v6
	s_waitcnt lgkmcnt(2)
	ds_write_b32 v5, v11
	v_add_u32_e32 v5, v11, v7
	ds_write_b32 v1, v5
.LBB0_40:
	s_or_b64 exec, exec, s[0:1]
	s_waitcnt lgkmcnt(0)
	s_barrier
	s_and_saveexec_b64 s[0:1], s[16:17]
	s_cbranch_execz .LBB0_42
; %bb.41:
	ds_read2_b32 v[6:7], v3 offset1:1
	ds_read2_b32 v[10:11], v4 offset1:1
	s_waitcnt lgkmcnt(1)
	v_add_u32_e32 v5, v7, v6
	s_waitcnt lgkmcnt(0)
	v_add_u32_e32 v6, v11, v10
	ds_write2_b32 v3, v7, v5 offset1:1
	ds_write2_b32 v4, v11, v6 offset1:1
.LBB0_42:
	s_or_b64 exec, exec, s[0:1]
	v_cmp_eq_u32_e64 s[0:1], 0, v0
	s_waitcnt lgkmcnt(0)
	s_barrier
                                        ; implicit-def: $sgpr16_sgpr17
                                        ; implicit-def: $sgpr14_sgpr15
                                        ; implicit-def: $sgpr12_sgpr13
                                        ; implicit-def: $sgpr10_sgpr11
                                        ; implicit-def: $sgpr8_sgpr9
	s_and_saveexec_b64 s[34:35], s[0:1]
	s_cbranch_execz .LBB0_48
; %bb.43:
	v_mov_b32_e32 v3, 0
	ds_read_b32 v4, v3 offset:1044
	s_mov_b64 s[10:11], exec
	s_mul_hi_u32 s4, s3, 20
	s_mul_i32 s3, s3, 20
	v_mbcnt_lo_u32_b32 v0, s10, 0
	s_add_u32 s8, s26, s3
	v_mbcnt_hi_u32_b32 v5, s11, v0
	s_addc_u32 s9, s27, s4
	v_cmp_eq_u32_e64 s[4:5], 0, v5
                                        ; implicit-def: $vgpr6
	s_and_saveexec_b64 s[12:13], s[4:5]
	s_cbranch_execz .LBB0_45
; %bb.44:
	s_bcnt1_i32_b64 s3, s[10:11]
	s_waitcnt lgkmcnt(0)
	v_mul_lo_u32 v0, v4, s3
	global_atomic_add v6, v3, v0, s[8:9] sc0
.LBB0_45:
	s_or_b64 exec, exec, s[12:13]
	ds_read_b32 v0, v3 offset:524
	s_waitcnt vmcnt(0)
	v_readfirstlane_b32 s3, v6
	s_waitcnt lgkmcnt(1)
	v_mul_lo_u32 v4, v4, v5
	s_mov_b64 s[12:13], exec
	v_add_u32_e32 v4, s3, v4
	ds_write_b32 v3, v4 offset:520
	v_mbcnt_lo_u32_b32 v4, s12, 0
	s_add_u32 s10, s8, 4
	v_mbcnt_hi_u32_b32 v4, s13, v4
	s_addc_u32 s11, s9, 0
	s_waitcnt lgkmcnt(1)
	v_sub_u32_e32 v3, 0, v0
	v_cmp_eq_u32_e64 s[4:5], 0, v4
                                        ; implicit-def: $vgpr5
	s_and_saveexec_b64 s[14:15], s[4:5]
	s_cbranch_execz .LBB0_47
; %bb.46:
	s_bcnt1_i32_b64 s3, s[12:13]
	v_mul_lo_u32 v5, v3, s3
	v_mov_b32_e32 v6, 0
	global_atomic_add v5, v6, v5, s[10:11] sc0
.LBB0_47:
	s_or_b64 exec, exec, s[14:15]
	s_add_u32 s12, s8, 8
	s_addc_u32 s13, s9, 0
	s_add_u32 s14, s8, 12
	s_addc_u32 s15, s9, 0
	s_waitcnt vmcnt(0)
	v_readfirstlane_b32 s3, v5
	v_mul_lo_u32 v3, v3, v4
	s_add_u32 s16, s8, 16
	v_add_u32_e32 v3, s3, v3
	s_addc_u32 s17, s9, 0
	v_sub_u32_e32 v0, v3, v0
	v_mov_b32_e32 v3, 0
	ds_write_b32 v3, v0 offset:516
.LBB0_48:
	s_or_b64 exec, exec, s[34:35]
	s_and_b64 s[4:5], s[24:25], exec
	s_cselect_b32 s5, s23, s21
	s_cselect_b32 s4, s22, s20
	s_waitcnt lgkmcnt(0)
	s_barrier
	s_and_saveexec_b64 s[22:23], vcc
	s_cbranch_execz .LBB0_55
; %bb.49:
	v_mov_b32_e32 v3, 0
	ds_read_b32 v4, v1
	ds_read2_b32 v[0:1], v3 offset0:129 offset1:130
	ds_read_b32 v5, v8
	s_mov_b64 s[24:25], 0
	s_waitcnt lgkmcnt(1)
	v_add_u32_e32 v0, v4, v0
	s_waitcnt lgkmcnt(0)
	v_add_u32_e32 v4, v5, v1
	s_branch .LBB0_51
.LBB0_50:                               ;   in Loop: Header=BB0_51 Depth=1
	s_or_b64 exec, exec, s[26:27]
	v_add_u32_e32 v2, 0x80, v2
	v_cmp_le_u32_e32 vcc, s29, v2
	s_or_b64 s[24:25], vcc, s[24:25]
	s_andn2_b64 exec, exec, s[24:25]
	s_cbranch_execz .LBB0_55
.LBB0_51:                               ; =>This Inner Loop Header: Depth=1
	v_lshl_add_u64 v[6:7], v[2:3], 2, s[18:19]
	global_load_dword v6, v[6:7], off
	s_waitcnt vmcnt(0)
	v_cmp_gt_u32_e32 vcc, s30, v6
	s_and_saveexec_b64 s[26:27], vcc
	s_cbranch_execz .LBB0_53
; %bb.52:                               ;   in Loop: Header=BB0_51 Depth=1
	v_mov_b32_e32 v5, v3
	v_lshl_add_u64 v[8:9], v[4:5], 2, s[4:5]
	v_add_u32_e32 v4, 1, v4
	global_store_dword v[8:9], v6, off
.LBB0_53:                               ;   in Loop: Header=BB0_51 Depth=1
	s_or_b64 exec, exec, s[26:27]
	v_cmp_lt_u32_e32 vcc, s30, v6
	s_and_saveexec_b64 s[26:27], vcc
	s_cbranch_execz .LBB0_50
; %bb.54:                               ;   in Loop: Header=BB0_51 Depth=1
	v_mov_b32_e32 v1, v3
	v_lshl_add_u64 v[8:9], v[0:1], 2, s[4:5]
	v_add_u32_e32 v0, 1, v0
	global_store_dword v[8:9], v6, off
	s_branch .LBB0_50
.LBB0_55:
	s_or_b64 exec, exec, s[22:23]
	s_barrier
	s_and_saveexec_b64 s[18:19], s[0:1]
	s_cbranch_execz .LBB0_72
; %bb.56:
	s_mov_b64 s[18:19], exec
	v_mbcnt_lo_u32_b32 v0, s18, 0
	v_mbcnt_hi_u32_b32 v0, s19, v0
	v_cmp_eq_u32_e32 vcc, 0, v0
                                        ; implicit-def: $vgpr1
	s_and_saveexec_b64 s[0:1], vcc
	s_cbranch_execz .LBB0_58
; %bb.57:
	s_bcnt1_i32_b64 s3, s[18:19]
	s_sub_i32 s3, 0, s3
	v_mov_b32_e32 v1, 0
	v_mov_b32_e32 v2, s3
	global_atomic_add v1, v1, v2, s[16:17] sc0
.LBB0_58:
	s_or_b64 exec, exec, s[0:1]
	s_waitcnt vmcnt(0)
	v_readfirstlane_b32 s0, v1
	s_nop 1
	v_sub_u32_e32 v0, s0, v0
	v_cmp_eq_u32_e32 vcc, 0, v0
	s_and_b64 exec, exec, vcc
	s_cbranch_execz .LBB0_72
; %bb.59:
	v_mov_b32_e32 v0, 0
	global_load_dword v1, v0, s[8:9]
	global_load_dword v2, v0, s[10:11]
	;; [unrolled: 1-line block ×4, first 2 shown]
	s_waitcnt vmcnt(3)
	v_readfirstlane_b32 s14, v1
	s_waitcnt vmcnt(2)
	v_cmp_le_u32_e32 vcc, v2, v1
	v_readfirstlane_b32 s0, v2
	s_waitcnt vmcnt(1)
	v_readfirstlane_b32 s8, v3
	s_waitcnt vmcnt(0)
	v_readfirstlane_b32 s3, v4
	s_cbranch_vccnz .LBB0_67
; %bb.60:
	s_sub_i32 s1, s0, s14
	s_mov_b64 s[12:13], -1
	s_cmp_lt_u32 s1, 2
	s_mov_b32 s10, s14
	s_cbranch_scc1 .LBB0_64
; %bb.61:
	s_and_b32 s9, s1, -2
	s_mov_b32 s12, s30
	s_mov_b32 s13, s30
	;; [unrolled: 1-line block ×3, first 2 shown]
	v_mov_b32_e32 v1, 0
	v_mov_b64_e32 v[2:3], s[12:13]
	s_mov_b32 s10, s14
	s_mov_b32 s12, s9
.LBB0_62:                               ; =>This Inner Loop Header: Depth=1
	s_lshl_b64 s[16:17], s[10:11], 2
	s_add_u32 s16, s20, s16
	s_addc_u32 s17, s21, s17
	s_add_i32 s12, s12, -2
	s_add_i32 s10, s10, 2
	s_cmp_lg_u32 s12, 0
	global_store_dwordx2 v1, v[2:3], s[16:17]
	s_cbranch_scc1 .LBB0_62
; %bb.63:
	s_add_i32 s10, s14, s9
	s_cmp_lg_u32 s1, s9
	s_cselect_b64 s[12:13], -1, 0
.LBB0_64:
	s_and_b64 vcc, exec, s[12:13]
	s_cbranch_vccz .LBB0_67
; %bb.65:
	s_mov_b32 s11, 0
	s_lshl_b64 s[12:13], s[10:11], 2
	s_add_u32 s12, s20, s12
	s_addc_u32 s13, s21, s13
	v_mov_b32_e32 v1, 0
	v_mov_b32_e32 v2, s30
.LBB0_66:                               ; =>This Inner Loop Header: Depth=1
	s_add_i32 s10, s10, 1
	global_store_dword v1, v2, s[12:13]
	s_add_u32 s12, s12, 4
	s_addc_u32 s13, s13, 0
	s_cmp_lt_u32 s10, s0
	s_cbranch_scc1 .LBB0_66
.LBB0_67:
	s_mov_b32 s9, 0
	s_lshl_b64 s[10:11], s[8:9], 2
	s_add_u32 s10, s4, s10
	s_addc_u32 s11, s5, s11
	s_add_i32 s12, s3, -1
	s_mov_b32 s13, s9
	s_lshl_b64 s[12:13], s[12:13], 2
	s_add_u32 s12, s4, s12
	s_addc_u32 s13, s5, s13
	global_load_dword v6, v0, s[10:11]
	global_load_dword v2, v0, s[12:13]
	s_cmp_ge_u32 s8, s14
	s_cbranch_scc1 .LBB0_69
; %bb.68:
	s_add_i32 s1, s8, s14
	s_lshr_b32 s10, s1, 1
	s_mov_b32 s11, s9
	s_lshl_b64 s[10:11], s[10:11], 2
	s_add_u32 s10, s4, s10
	s_addc_u32 s11, s5, s11
	v_mov_b32_e32 v0, 0
	global_load_dword v1, v0, s[10:11]
	s_add_i32 s10, s14, -1
	s_mov_b32 s11, s9
	s_lshl_b64 s[10:11], s[10:11], 2
	s_add_u32 s10, s4, s10
	s_addc_u32 s11, s5, s11
	global_load_dword v0, v0, s[10:11]
	s_waitcnt vmcnt(1)
	v_max_u32_e32 v3, v6, v1
	v_min_u32_e32 v1, v6, v1
	s_waitcnt vmcnt(0)
	v_max_u32_e32 v1, v1, v0
	v_cmp_lt_u32_e32 vcc, v3, v0
	s_nop 1
	v_cndmask_b32_e32 v6, v1, v3, vcc
.LBB0_69:
	s_cmp_ge_u32 s0, s3
	s_cbranch_scc1 .LBB0_71
; %bb.70:
	s_mov_b32 s1, 0
	s_lshl_b64 s[10:11], s[0:1], 2
	s_add_u32 s10, s4, s10
	s_addc_u32 s11, s5, s11
	s_add_i32 s9, s3, s0
	s_lshr_b32 s12, s9, 1
	s_mov_b32 s13, s1
	s_lshl_b64 s[12:13], s[12:13], 2
	v_mov_b32_e32 v0, 0
	s_add_u32 s4, s4, s12
	s_addc_u32 s5, s5, s13
	global_load_dword v1, v0, s[10:11]
	global_load_dword v3, v0, s[4:5]
	s_waitcnt vmcnt(0)
	v_max_u32_e32 v0, v1, v3
	v_min_u32_e32 v1, v1, v3
	v_max_u32_e32 v1, v1, v2
	v_cmp_lt_u32_e32 vcc, v0, v2
	s_nop 1
	v_cndmask_b32_e32 v2, v1, v0, vcc
.LBB0_71:
	s_lshl_b32 s4, s2, 1
	s_mov_b32 s5, 0
	s_lshl_b64 s[4:5], s[4:5], 4
	s_add_u32 s4, s6, s4
	s_addc_u32 s5, s7, s5
	s_xor_b32 s1, s31, 1
	v_mov_b32_e32 v8, 0
	v_mov_b32_e32 v4, s8
	;; [unrolled: 1-line block ×7, first 2 shown]
	s_waitcnt vmcnt(1)
	global_store_dwordx4 v8, v[4:7], s[4:5]
	s_waitcnt vmcnt(1)
	global_store_dwordx4 v8, v[0:3], s[4:5] offset:16
.LBB0_72:
	s_endpgm
	.section	.rodata,"a",@progbits
	.p2align	6, 0x0
	.amdhsa_kernel _Z13gqsort_kernelIjEvPT_S1_P12block_recordIS0_EP13parent_recordP11work_recordIS0_E
		.amdhsa_group_segment_fixed_size 1048
		.amdhsa_private_segment_fixed_size 0
		.amdhsa_kernarg_size 40
		.amdhsa_user_sgpr_count 2
		.amdhsa_user_sgpr_dispatch_ptr 0
		.amdhsa_user_sgpr_queue_ptr 0
		.amdhsa_user_sgpr_kernarg_segment_ptr 1
		.amdhsa_user_sgpr_dispatch_id 0
		.amdhsa_user_sgpr_kernarg_preload_length 0
		.amdhsa_user_sgpr_kernarg_preload_offset 0
		.amdhsa_user_sgpr_private_segment_size 0
		.amdhsa_uses_dynamic_stack 0
		.amdhsa_enable_private_segment 0
		.amdhsa_system_sgpr_workgroup_id_x 1
		.amdhsa_system_sgpr_workgroup_id_y 0
		.amdhsa_system_sgpr_workgroup_id_z 0
		.amdhsa_system_sgpr_workgroup_info 0
		.amdhsa_system_vgpr_workitem_id 0
		.amdhsa_next_free_vgpr 20
		.amdhsa_next_free_sgpr 36
		.amdhsa_accum_offset 20
		.amdhsa_reserve_vcc 1
		.amdhsa_float_round_mode_32 0
		.amdhsa_float_round_mode_16_64 0
		.amdhsa_float_denorm_mode_32 3
		.amdhsa_float_denorm_mode_16_64 3
		.amdhsa_dx10_clamp 1
		.amdhsa_ieee_mode 1
		.amdhsa_fp16_overflow 0
		.amdhsa_tg_split 0
		.amdhsa_exception_fp_ieee_invalid_op 0
		.amdhsa_exception_fp_denorm_src 0
		.amdhsa_exception_fp_ieee_div_zero 0
		.amdhsa_exception_fp_ieee_overflow 0
		.amdhsa_exception_fp_ieee_underflow 0
		.amdhsa_exception_fp_ieee_inexact 0
		.amdhsa_exception_int_div_zero 0
	.end_amdhsa_kernel
	.section	.text._Z13gqsort_kernelIjEvPT_S1_P12block_recordIS0_EP13parent_recordP11work_recordIS0_E,"axG",@progbits,_Z13gqsort_kernelIjEvPT_S1_P12block_recordIS0_EP13parent_recordP11work_recordIS0_E,comdat
.Lfunc_end0:
	.size	_Z13gqsort_kernelIjEvPT_S1_P12block_recordIS0_EP13parent_recordP11work_recordIS0_E, .Lfunc_end0-_Z13gqsort_kernelIjEvPT_S1_P12block_recordIS0_EP13parent_recordP11work_recordIS0_E
                                        ; -- End function
	.set _Z13gqsort_kernelIjEvPT_S1_P12block_recordIS0_EP13parent_recordP11work_recordIS0_E.num_vgpr, 20
	.set _Z13gqsort_kernelIjEvPT_S1_P12block_recordIS0_EP13parent_recordP11work_recordIS0_E.num_agpr, 0
	.set _Z13gqsort_kernelIjEvPT_S1_P12block_recordIS0_EP13parent_recordP11work_recordIS0_E.numbered_sgpr, 36
	.set _Z13gqsort_kernelIjEvPT_S1_P12block_recordIS0_EP13parent_recordP11work_recordIS0_E.num_named_barrier, 0
	.set _Z13gqsort_kernelIjEvPT_S1_P12block_recordIS0_EP13parent_recordP11work_recordIS0_E.private_seg_size, 0
	.set _Z13gqsort_kernelIjEvPT_S1_P12block_recordIS0_EP13parent_recordP11work_recordIS0_E.uses_vcc, 1
	.set _Z13gqsort_kernelIjEvPT_S1_P12block_recordIS0_EP13parent_recordP11work_recordIS0_E.uses_flat_scratch, 0
	.set _Z13gqsort_kernelIjEvPT_S1_P12block_recordIS0_EP13parent_recordP11work_recordIS0_E.has_dyn_sized_stack, 0
	.set _Z13gqsort_kernelIjEvPT_S1_P12block_recordIS0_EP13parent_recordP11work_recordIS0_E.has_recursion, 0
	.set _Z13gqsort_kernelIjEvPT_S1_P12block_recordIS0_EP13parent_recordP11work_recordIS0_E.has_indirect_call, 0
	.section	.AMDGPU.csdata,"",@progbits
; Kernel info:
; codeLenInByte = 3372
; TotalNumSgprs: 42
; NumVgprs: 20
; NumAgprs: 0
; TotalNumVgprs: 20
; ScratchSize: 0
; MemoryBound: 0
; FloatMode: 240
; IeeeMode: 1
; LDSByteSize: 1048 bytes/workgroup (compile time only)
; SGPRBlocks: 5
; VGPRBlocks: 2
; NumSGPRsForWavesPerEU: 42
; NumVGPRsForWavesPerEU: 20
; AccumOffset: 20
; Occupancy: 8
; WaveLimiterHint : 1
; COMPUTE_PGM_RSRC2:SCRATCH_EN: 0
; COMPUTE_PGM_RSRC2:USER_SGPR: 2
; COMPUTE_PGM_RSRC2:TRAP_HANDLER: 0
; COMPUTE_PGM_RSRC2:TGID_X_EN: 1
; COMPUTE_PGM_RSRC2:TGID_Y_EN: 0
; COMPUTE_PGM_RSRC2:TGID_Z_EN: 0
; COMPUTE_PGM_RSRC2:TIDIG_COMP_CNT: 0
; COMPUTE_PGM_RSRC3_GFX90A:ACCUM_OFFSET: 4
; COMPUTE_PGM_RSRC3_GFX90A:TG_SPLIT: 0
	.text
	.p2align	2                               ; -- Begin function _Z14sort_thresholdIjEvPT_S1_jjS1_j
	.type	_Z14sort_thresholdIjEvPT_S1_jjS1_j,@function
_Z14sort_thresholdIjEvPT_S1_jjS1_j:     ; @_Z14sort_thresholdIjEvPT_S1_jjS1_j
; %bb.0:
	s_waitcnt vmcnt(0) expcnt(0) lgkmcnt(0)
	v_sub_u32_e32 v5, v5, v4
	s_movk_i32 s0, 0x100
	v_cmp_ne_u32_e32 vcc, s0, v5
	s_and_saveexec_b64 s[0:1], vcc
	s_xor_b64 s[2:3], exec, s[0:1]
	s_cbranch_execnz .LBB1_3
; %bb.1:
	s_andn2_saveexec_b64 s[0:1], s[2:3]
	s_cbranch_execnz .LBB1_18
.LBB1_2:
	s_or_b64 exec, exec, s[0:1]
	s_waitcnt vmcnt(0) lgkmcnt(0)
	s_setpc_b64 s[30:31]
.LBB1_3:
	v_cmp_gt_u32_e32 vcc, 2, v5
	s_and_saveexec_b64 s[0:1], vcc
	s_xor_b64 s[4:5], exec, s[0:1]
	s_cbranch_execz .LBB1_7
; %bb.4:
	v_cmp_eq_u32_e32 vcc, 1, v5
	v_cmp_eq_u32_e64 s[0:1], 0, v6
	s_and_b64 s[6:7], vcc, s[0:1]
	s_and_saveexec_b64 s[0:1], s[6:7]
	s_cbranch_execz .LBB1_6
; %bb.5:
	v_mov_b32_e32 v5, 0
	v_lshlrev_b64 v[4:5], 2, v[4:5]
	v_lshl_add_u64 v[0:1], v[0:1], 0, v[4:5]
	flat_load_dword v6, v[0:1]
	v_lshl_add_u64 v[0:1], v[2:3], 0, v[4:5]
	s_waitcnt vmcnt(0) lgkmcnt(0)
	flat_store_dword v[0:1], v6
.LBB1_6:
	s_or_b64 exec, exec, s[0:1]
                                        ; implicit-def: $vgpr6
                                        ; implicit-def: $vgpr5
                                        ; implicit-def: $vgpr4
                                        ; implicit-def: $vgpr2_vgpr3
                                        ; implicit-def: $vgpr0_vgpr1
.LBB1_7:
	s_andn2_saveexec_b64 s[0:1], s[4:5]
	s_cbranch_execz .LBB1_17
; %bb.8:
	s_movk_i32 s4, 0x100
	v_cmp_gt_u32_e32 vcc, s4, v6
	s_and_saveexec_b64 s[4:5], vcc
	s_cbranch_execz .LBB1_13
; %bb.9:
	v_mov_b32_e32 v7, 0x3600
	v_lshl_add_u32 v7, v6, 2, v7
	s_mov_b64 s[6:7], 0
	v_mov_b32_e32 v9, 0
	s_movk_i32 s10, 0x7f
	v_mov_b32_e32 v10, v6
	s_branch .LBB1_11
.LBB1_10:                               ;   in Loop: Header=BB1_11 Depth=1
	s_or_b64 exec, exec, s[8:9]
	s_waitcnt vmcnt(0) lgkmcnt(0)
	ds_write_b32 v7, v8
	v_add_u32_e32 v8, 0x80, v10
	v_cmp_lt_u32_e32 vcc, s10, v10
	v_add_u32_e32 v7, 0x200, v7
	s_or_b64 s[6:7], vcc, s[6:7]
	v_mov_b32_e32 v10, v8
	s_andn2_b64 exec, exec, s[6:7]
	s_cbranch_execz .LBB1_13
.LBB1_11:                               ; =>This Inner Loop Header: Depth=1
	v_cmp_lt_u32_e32 vcc, v10, v5
	v_mov_b32_e32 v8, -1
	s_and_saveexec_b64 s[8:9], vcc
	s_cbranch_execz .LBB1_10
; %bb.12:                               ;   in Loop: Header=BB1_11 Depth=1
	v_add_u32_e32 v8, v4, v10
	v_lshl_add_u64 v[12:13], v[8:9], 2, v[0:1]
	flat_load_dword v8, v[12:13]
	s_branch .LBB1_10
.LBB1_13:
	s_or_b64 exec, exec, s[4:5]
	v_lshlrev_b32_e32 v0, 3, v6
	s_waitcnt lgkmcnt(0)
	s_barrier
	ds_read_b64 v[8:9], v0 offset:13824
	v_lshlrev_b32_e32 v7, 1, v6
	v_and_b32_e32 v1, 1, v6
	v_cmp_eq_u32_e32 vcc, 0, v1
	v_sub_u32_e32 v1, v7, v1
	s_waitcnt lgkmcnt(0)
	v_max_u32_e32 v10, v8, v9
	v_min_u32_e32 v9, v8, v9
	v_lshlrev_b32_e32 v1, 2, v1
	v_cndmask_b32_e32 v8, v10, v9, vcc
	v_cndmask_b32_e32 v9, v9, v10, vcc
	v_add_u32_e32 v1, 0x3400, v1
	ds_write_b64 v0, v[8:9] offset:13824
	s_waitcnt lgkmcnt(0)
	s_barrier
	ds_read2_b32 v[8:9], v1 offset0:128 offset1:130
	v_and_b32_e32 v10, 2, v6
	v_cmp_eq_u32_e32 vcc, 0, v10
	s_waitcnt lgkmcnt(0)
	v_max_u32_e32 v11, v8, v9
	v_min_u32_e32 v8, v8, v9
	v_cndmask_b32_e32 v9, v11, v8, vcc
	v_cndmask_b32_e32 v8, v8, v11, vcc
	ds_write2_b32 v1, v9, v8 offset0:128 offset1:130
	s_waitcnt lgkmcnt(0)
	s_barrier
	ds_read_b64 v[8:9], v0 offset:13824
	s_waitcnt lgkmcnt(0)
	v_max_u32_e32 v10, v8, v9
	v_min_u32_e32 v9, v8, v9
	v_cndmask_b32_e32 v8, v10, v9, vcc
	v_cndmask_b32_e32 v9, v9, v10, vcc
	ds_write_b64 v0, v[8:9] offset:13824
	v_and_b32_e32 v8, 3, v6
	v_sub_u32_e32 v8, v7, v8
	v_lshlrev_b32_e32 v8, 2, v8
	v_add_u32_e32 v8, 0x3400, v8
	s_waitcnt lgkmcnt(0)
	s_barrier
	ds_read2_b32 v[10:11], v8 offset0:128 offset1:132
	v_and_b32_e32 v9, 4, v6
	v_cmp_eq_u32_e32 vcc, 0, v9
	s_waitcnt lgkmcnt(0)
	v_max_u32_e32 v12, v10, v11
	v_min_u32_e32 v10, v10, v11
	v_cndmask_b32_e32 v9, v12, v10, vcc
	v_cndmask_b32_e32 v10, v10, v12, vcc
	ds_write2_b32 v8, v9, v10 offset0:128 offset1:132
	s_waitcnt lgkmcnt(0)
	s_barrier
	ds_read2_b32 v[10:11], v1 offset0:128 offset1:130
	v_and_b32_e32 v12, 8, v6
	s_waitcnt lgkmcnt(0)
	v_max_u32_e32 v9, v10, v11
	v_min_u32_e32 v10, v10, v11
	v_cndmask_b32_e32 v11, v9, v10, vcc
	v_cndmask_b32_e32 v9, v10, v9, vcc
	ds_write2_b32 v1, v11, v9 offset0:128 offset1:130
	s_waitcnt lgkmcnt(0)
	s_barrier
	ds_read_b64 v[10:11], v0 offset:13824
	s_waitcnt lgkmcnt(0)
	v_max_u32_e32 v9, v10, v11
	v_min_u32_e32 v11, v10, v11
	v_cndmask_b32_e32 v10, v9, v11, vcc
	v_cndmask_b32_e32 v11, v11, v9, vcc
	v_and_b32_e32 v9, 7, v6
	v_sub_u32_e32 v9, v7, v9
	v_lshlrev_b32_e32 v9, 2, v9
	v_add_u32_e32 v9, 0x3400, v9
	ds_write_b64 v0, v[10:11] offset:13824
	s_waitcnt lgkmcnt(0)
	s_barrier
	ds_read2_b32 v[10:11], v9 offset0:128 offset1:136
	v_cmp_eq_u32_e32 vcc, 0, v12
	s_waitcnt lgkmcnt(0)
	v_max_u32_e32 v13, v10, v11
	v_min_u32_e32 v10, v10, v11
	v_cndmask_b32_e32 v11, v13, v10, vcc
	v_cndmask_b32_e32 v10, v10, v13, vcc
	ds_write2_b32 v9, v11, v10 offset0:128 offset1:136
	s_waitcnt lgkmcnt(0)
	s_barrier
	ds_read2_b32 v[10:11], v8 offset0:128 offset1:132
	v_and_b32_e32 v13, 16, v6
	s_waitcnt lgkmcnt(0)
	v_max_u32_e32 v12, v10, v11
	v_min_u32_e32 v10, v10, v11
	v_cndmask_b32_e32 v11, v12, v10, vcc
	v_cndmask_b32_e32 v10, v10, v12, vcc
	ds_write2_b32 v8, v11, v10 offset0:128 offset1:132
	s_waitcnt lgkmcnt(0)
	s_barrier
	ds_read2_b32 v[10:11], v1 offset0:128 offset1:130
	s_waitcnt lgkmcnt(0)
	v_max_u32_e32 v12, v10, v11
	v_min_u32_e32 v10, v10, v11
	v_cndmask_b32_e32 v11, v12, v10, vcc
	v_cndmask_b32_e32 v10, v10, v12, vcc
	ds_write2_b32 v1, v11, v10 offset0:128 offset1:130
	s_waitcnt lgkmcnt(0)
	s_barrier
	ds_read_b64 v[10:11], v0 offset:13824
	s_waitcnt lgkmcnt(0)
	v_max_u32_e32 v12, v10, v11
	v_min_u32_e32 v11, v10, v11
	v_cndmask_b32_e32 v10, v12, v11, vcc
	v_cndmask_b32_e32 v11, v11, v12, vcc
	ds_write_b64 v0, v[10:11] offset:13824
	v_and_b32_e32 v10, 15, v6
	v_sub_u32_e32 v10, v7, v10
	v_lshlrev_b32_e32 v10, 2, v10
	v_add_u32_e32 v12, 0x3400, v10
	s_waitcnt lgkmcnt(0)
	s_barrier
	ds_read2_b32 v[10:11], v12 offset0:128 offset1:144
	v_cmp_eq_u32_e32 vcc, 0, v13
	s_waitcnt lgkmcnt(0)
	v_max_u32_e32 v14, v10, v11
	v_min_u32_e32 v10, v10, v11
	v_cndmask_b32_e32 v11, v14, v10, vcc
	v_cndmask_b32_e32 v10, v10, v14, vcc
	ds_write2_b32 v12, v11, v10 offset0:128 offset1:144
	s_waitcnt lgkmcnt(0)
	s_barrier
	ds_read2_b32 v[10:11], v9 offset0:128 offset1:136
	v_and_b32_e32 v14, 32, v6
	s_waitcnt lgkmcnt(0)
	v_max_u32_e32 v13, v10, v11
	v_min_u32_e32 v10, v10, v11
	v_cndmask_b32_e32 v11, v13, v10, vcc
	v_cndmask_b32_e32 v10, v10, v13, vcc
	ds_write2_b32 v9, v11, v10 offset0:128 offset1:136
	s_waitcnt lgkmcnt(0)
	s_barrier
	ds_read2_b32 v[10:11], v8 offset0:128 offset1:132
	s_waitcnt lgkmcnt(0)
	v_max_u32_e32 v13, v10, v11
	v_min_u32_e32 v10, v10, v11
	v_cndmask_b32_e32 v11, v13, v10, vcc
	v_cndmask_b32_e32 v10, v10, v13, vcc
	ds_write2_b32 v8, v11, v10 offset0:128 offset1:132
	s_waitcnt lgkmcnt(0)
	s_barrier
	ds_read2_b32 v[10:11], v1 offset0:128 offset1:130
	s_waitcnt lgkmcnt(0)
	v_max_u32_e32 v13, v10, v11
	v_min_u32_e32 v10, v10, v11
	v_cndmask_b32_e32 v11, v13, v10, vcc
	v_cndmask_b32_e32 v10, v10, v13, vcc
	ds_write2_b32 v1, v11, v10 offset0:128 offset1:130
	s_waitcnt lgkmcnt(0)
	s_barrier
	ds_read_b64 v[10:11], v0 offset:13824
	s_waitcnt lgkmcnt(0)
	v_max_u32_e32 v13, v10, v11
	v_min_u32_e32 v11, v10, v11
	v_cndmask_b32_e32 v10, v13, v11, vcc
	v_cndmask_b32_e32 v11, v11, v13, vcc
	ds_write_b64 v0, v[10:11] offset:13824
	v_and_b32_e32 v10, 31, v6
	v_sub_u32_e32 v10, v7, v10
	v_lshlrev_b32_e32 v10, 2, v10
	v_add_u32_e32 v13, 0x3400, v10
	s_waitcnt lgkmcnt(0)
	s_barrier
	ds_read2_b32 v[10:11], v13 offset0:128 offset1:160
	v_cmp_eq_u32_e32 vcc, 0, v14
	s_waitcnt lgkmcnt(0)
	v_max_u32_e32 v15, v10, v11
	v_min_u32_e32 v10, v10, v11
	v_cndmask_b32_e32 v11, v15, v10, vcc
	v_cndmask_b32_e32 v10, v10, v15, vcc
	ds_write2_b32 v13, v11, v10 offset0:128 offset1:160
	s_waitcnt lgkmcnt(0)
	s_barrier
	ds_read2_b32 v[10:11], v12 offset0:128 offset1:144
	v_and_b32_e32 v15, 64, v6
	s_waitcnt lgkmcnt(0)
	v_max_u32_e32 v14, v10, v11
	v_min_u32_e32 v10, v10, v11
	v_cndmask_b32_e32 v11, v14, v10, vcc
	v_cndmask_b32_e32 v10, v10, v14, vcc
	ds_write2_b32 v12, v11, v10 offset0:128 offset1:144
	s_waitcnt lgkmcnt(0)
	s_barrier
	ds_read2_b32 v[10:11], v9 offset0:128 offset1:136
	s_waitcnt lgkmcnt(0)
	v_max_u32_e32 v14, v10, v11
	v_min_u32_e32 v10, v10, v11
	v_cndmask_b32_e32 v11, v14, v10, vcc
	v_cndmask_b32_e32 v10, v10, v14, vcc
	ds_write2_b32 v9, v11, v10 offset0:128 offset1:136
	s_waitcnt lgkmcnt(0)
	s_barrier
	ds_read2_b32 v[10:11], v8 offset0:128 offset1:132
	s_waitcnt lgkmcnt(0)
	v_max_u32_e32 v14, v10, v11
	v_min_u32_e32 v10, v10, v11
	v_cndmask_b32_e32 v11, v14, v10, vcc
	v_cndmask_b32_e32 v10, v10, v14, vcc
	ds_write2_b32 v8, v11, v10 offset0:128 offset1:132
	s_waitcnt lgkmcnt(0)
	s_barrier
	ds_read2_b32 v[10:11], v1 offset0:128 offset1:130
	s_waitcnt lgkmcnt(0)
	v_max_u32_e32 v14, v10, v11
	v_min_u32_e32 v10, v10, v11
	v_cndmask_b32_e32 v11, v14, v10, vcc
	v_cndmask_b32_e32 v10, v10, v14, vcc
	ds_write2_b32 v1, v11, v10 offset0:128 offset1:130
	s_waitcnt lgkmcnt(0)
	s_barrier
	ds_read_b64 v[10:11], v0 offset:13824
	s_waitcnt lgkmcnt(0)
	v_max_u32_e32 v14, v10, v11
	v_min_u32_e32 v11, v10, v11
	v_cndmask_b32_e32 v10, v14, v11, vcc
	v_cndmask_b32_e32 v11, v11, v14, vcc
	ds_write_b64 v0, v[10:11] offset:13824
	v_and_b32_e32 v10, 63, v6
	v_sub_u32_e32 v10, v7, v10
	v_lshlrev_b32_e32 v14, 2, v10
	s_waitcnt lgkmcnt(0)
	s_barrier
	ds_read2st64_b32 v[10:11], v14 offset0:54 offset1:55
	v_cmp_eq_u32_e32 vcc, 0, v15
	s_waitcnt lgkmcnt(0)
	v_max_u32_e32 v16, v10, v11
	v_min_u32_e32 v10, v10, v11
	v_cndmask_b32_e32 v11, v16, v10, vcc
	v_cndmask_b32_e32 v10, v10, v16, vcc
	ds_write2st64_b32 v14, v11, v10 offset0:54 offset1:55
	s_waitcnt lgkmcnt(0)
	s_barrier
	ds_read2_b32 v[10:11], v13 offset0:128 offset1:160
	s_waitcnt lgkmcnt(0)
	v_max_u32_e32 v15, v10, v11
	v_min_u32_e32 v10, v10, v11
	v_cndmask_b32_e32 v11, v15, v10, vcc
	v_cndmask_b32_e32 v10, v10, v15, vcc
	ds_write2_b32 v13, v11, v10 offset0:128 offset1:160
	s_waitcnt lgkmcnt(0)
	s_barrier
	ds_read2_b32 v[10:11], v12 offset0:128 offset1:144
	s_waitcnt lgkmcnt(0)
	v_max_u32_e32 v15, v10, v11
	v_min_u32_e32 v10, v10, v11
	v_cndmask_b32_e32 v11, v15, v10, vcc
	v_cndmask_b32_e32 v10, v10, v15, vcc
	ds_write2_b32 v12, v11, v10 offset0:128 offset1:144
	;; [unrolled: 9-line block ×5, first 2 shown]
	s_waitcnt lgkmcnt(0)
	s_barrier
	ds_read_b64 v[10:11], v0 offset:13824
	s_waitcnt lgkmcnt(0)
	v_max_u32_e32 v15, v10, v11
	v_min_u32_e32 v11, v10, v11
	v_cndmask_b32_e32 v10, v15, v11, vcc
	v_cndmask_b32_e32 v11, v11, v15, vcc
	ds_write_b64 v0, v[10:11] offset:13824
	v_and_b32_e32 v10, 0x7f, v6
	v_sub_u32_e32 v7, v7, v10
	v_lshlrev_b32_e32 v7, 2, v7
	s_waitcnt lgkmcnt(0)
	s_barrier
	ds_read2st64_b32 v[10:11], v7 offset0:54 offset1:56
	v_cmp_lt_u32_e32 vcc, v6, v5
	s_waitcnt lgkmcnt(0)
	v_min_u32_e32 v15, v10, v11
	v_max_u32_e32 v10, v10, v11
	ds_write2st64_b32 v7, v15, v10 offset0:54 offset1:56
	s_waitcnt lgkmcnt(0)
	s_barrier
	ds_read2st64_b32 v[10:11], v14 offset0:54 offset1:55
	s_waitcnt lgkmcnt(0)
	v_min_u32_e32 v7, v10, v11
	v_max_u32_e32 v10, v10, v11
	ds_write2st64_b32 v14, v7, v10 offset0:54 offset1:55
	s_waitcnt lgkmcnt(0)
	s_barrier
	ds_read2_b32 v[10:11], v13 offset0:128 offset1:160
	s_waitcnt lgkmcnt(0)
	v_min_u32_e32 v7, v10, v11
	v_max_u32_e32 v10, v10, v11
	ds_write2_b32 v13, v7, v10 offset0:128 offset1:160
	s_waitcnt lgkmcnt(0)
	s_barrier
	ds_read2_b32 v[10:11], v12 offset0:128 offset1:144
	s_waitcnt lgkmcnt(0)
	v_min_u32_e32 v7, v10, v11
	v_max_u32_e32 v10, v10, v11
	ds_write2_b32 v12, v7, v10 offset0:128 offset1:144
	;; [unrolled: 7-line block ×5, first 2 shown]
	s_waitcnt lgkmcnt(0)
	s_barrier
	ds_read_b64 v[8:9], v0 offset:13824
	s_waitcnt lgkmcnt(0)
	v_min_u32_e32 v10, v8, v9
	v_max_u32_e32 v11, v8, v9
	ds_write_b64 v0, v[10:11] offset:13824
	s_waitcnt lgkmcnt(0)
	s_barrier
	s_and_saveexec_b64 s[4:5], vcc
	s_cbranch_execz .LBB1_16
; %bb.14:
	v_mov_b32_e32 v0, 0x3600
	v_lshl_add_u32 v7, v6, 2, v0
	s_mov_b64 s[6:7], 0
	v_mov_b32_e32 v1, 0
.LBB1_15:                               ; =>This Inner Loop Header: Depth=1
	ds_read_b32 v10, v7
	v_add_u32_e32 v0, v4, v6
	v_add_u32_e32 v6, 0x80, v6
	v_cmp_ge_u32_e32 vcc, v6, v5
	v_add_u32_e32 v7, 0x200, v7
	v_lshl_add_u64 v[8:9], v[0:1], 2, v[2:3]
	s_or_b64 s[6:7], vcc, s[6:7]
	s_waitcnt lgkmcnt(0)
	flat_store_dword v[8:9], v10
	s_andn2_b64 exec, exec, s[6:7]
	s_cbranch_execnz .LBB1_15
.LBB1_16:
	s_or_b64 exec, exec, s[4:5]
.LBB1_17:
	s_or_b64 exec, exec, s[0:1]
                                        ; implicit-def: $vgpr4
                                        ; implicit-def: $vgpr0_vgpr1
                                        ; implicit-def: $vgpr6
                                        ; implicit-def: $vgpr2_vgpr3
	s_andn2_saveexec_b64 s[0:1], s[2:3]
	s_cbranch_execz .LBB1_2
.LBB1_18:
	v_mov_b32_e32 v9, 0
	v_mov_b32_e32 v5, v9
	v_lshl_add_u64 v[16:17], v[4:5], 2, v[0:1]
	v_lshlrev_b32_e32 v8, 1, v6
	v_lshl_add_u64 v[10:11], v[8:9], 2, v[16:17]
	flat_load_dwordx2 v[18:19], v[10:11]
	v_and_b32_e32 v5, 1, v6
	v_sub_u32_e32 v14, v8, v5
	v_mov_b32_e32 v15, v9
	v_cmp_eq_u32_e32 vcc, 0, v5
	v_lshl_add_u64 v[12:13], v[14:15], 2, v[16:17]
	v_ashrrev_i32_e32 v15, 31, v14
	v_lshl_add_u64 v[14:15], v[14:15], 2, v[16:17]
	v_mov_b32_e32 v21, v9
	v_mov_b32_e32 v25, v9
	;; [unrolled: 1-line block ×5, first 2 shown]
	s_movk_i32 s2, 0x100
	s_movk_i32 s6, 0x7f
	s_waitcnt vmcnt(0) lgkmcnt(0)
	v_max_u32_e32 v7, v18, v19
	v_min_u32_e32 v19, v18, v19
	v_cndmask_b32_e32 v18, v7, v19, vcc
	v_cndmask_b32_e32 v19, v19, v7, vcc
	flat_store_dwordx2 v[10:11], v[18:19]
	s_waitcnt lgkmcnt(0)
	s_barrier
	flat_load_dword v5, v[12:13]
	flat_load_dword v7, v[14:15] offset:8
	v_and_b32_e32 v18, 2, v6
	v_cmp_eq_u32_e32 vcc, 0, v18
	s_waitcnt vmcnt(0) lgkmcnt(0)
	v_max_u32_e32 v19, v5, v7
	v_min_u32_e32 v5, v5, v7
	v_cndmask_b32_e32 v7, v19, v5, vcc
	v_cndmask_b32_e32 v5, v5, v19, vcc
	flat_store_dword v[12:13], v7
	flat_store_dword v[14:15], v5 offset:8
	s_waitcnt lgkmcnt(0)
	s_barrier
	flat_load_dwordx2 v[22:23], v[10:11]
	v_and_b32_e32 v5, 3, v6
	v_sub_u32_e32 v20, v8, v5
	v_lshl_add_u64 v[18:19], v[20:21], 2, v[16:17]
	v_ashrrev_i32_e32 v21, 31, v20
	v_lshl_add_u64 v[20:21], v[20:21], 2, v[16:17]
	s_waitcnt vmcnt(0) lgkmcnt(0)
	v_max_u32_e32 v5, v22, v23
	v_min_u32_e32 v7, v22, v23
	v_cndmask_b32_e32 v22, v5, v7, vcc
	v_cndmask_b32_e32 v23, v7, v5, vcc
	flat_store_dwordx2 v[10:11], v[22:23]
	s_waitcnt lgkmcnt(0)
	s_barrier
	flat_load_dword v5, v[18:19]
	flat_load_dword v7, v[20:21] offset:16
	v_and_b32_e32 v22, 4, v6
	v_cmp_eq_u32_e32 vcc, 0, v22
	s_waitcnt vmcnt(0) lgkmcnt(0)
	v_max_u32_e32 v23, v5, v7
	v_min_u32_e32 v5, v5, v7
	v_cndmask_b32_e32 v7, v23, v5, vcc
	v_cndmask_b32_e32 v5, v5, v23, vcc
	flat_store_dword v[18:19], v7
	flat_store_dword v[20:21], v5 offset:16
	s_waitcnt lgkmcnt(0)
	s_barrier
	flat_load_dword v5, v[12:13]
	flat_load_dword v7, v[14:15] offset:8
	s_waitcnt vmcnt(0) lgkmcnt(0)
	v_max_u32_e32 v22, v5, v7
	v_min_u32_e32 v5, v5, v7
	v_cndmask_b32_e32 v7, v22, v5, vcc
	v_cndmask_b32_e32 v5, v5, v22, vcc
	flat_store_dword v[12:13], v7
	flat_store_dword v[14:15], v5 offset:8
	s_waitcnt lgkmcnt(0)
	s_barrier
	flat_load_dwordx2 v[26:27], v[10:11]
	v_and_b32_e32 v5, 7, v6
	v_sub_u32_e32 v24, v8, v5
	v_lshl_add_u64 v[22:23], v[24:25], 2, v[16:17]
	v_ashrrev_i32_e32 v25, 31, v24
	v_lshl_add_u64 v[24:25], v[24:25], 2, v[16:17]
	s_waitcnt vmcnt(0) lgkmcnt(0)
	v_max_u32_e32 v5, v26, v27
	v_min_u32_e32 v7, v26, v27
	v_cndmask_b32_e32 v26, v5, v7, vcc
	v_cndmask_b32_e32 v27, v7, v5, vcc
	flat_store_dwordx2 v[10:11], v[26:27]
	s_waitcnt lgkmcnt(0)
	s_barrier
	flat_load_dword v5, v[22:23]
	flat_load_dword v7, v[24:25] offset:32
	v_and_b32_e32 v26, 8, v6
	v_cmp_eq_u32_e32 vcc, 0, v26
	s_waitcnt vmcnt(0) lgkmcnt(0)
	v_max_u32_e32 v27, v5, v7
	v_min_u32_e32 v5, v5, v7
	v_cndmask_b32_e32 v7, v27, v5, vcc
	v_cndmask_b32_e32 v5, v5, v27, vcc
	flat_store_dword v[22:23], v7
	flat_store_dword v[24:25], v5 offset:32
	s_waitcnt lgkmcnt(0)
	s_barrier
	flat_load_dword v5, v[18:19]
	flat_load_dword v7, v[20:21] offset:16
	s_waitcnt vmcnt(0) lgkmcnt(0)
	v_max_u32_e32 v26, v5, v7
	v_min_u32_e32 v5, v5, v7
	v_cndmask_b32_e32 v7, v26, v5, vcc
	v_cndmask_b32_e32 v5, v5, v26, vcc
	flat_store_dword v[18:19], v7
	flat_store_dword v[20:21], v5 offset:16
	s_waitcnt lgkmcnt(0)
	s_barrier
	flat_load_dword v5, v[12:13]
	flat_load_dword v7, v[14:15] offset:8
	s_waitcnt vmcnt(0) lgkmcnt(0)
	v_max_u32_e32 v26, v5, v7
	v_min_u32_e32 v5, v5, v7
	v_cndmask_b32_e32 v7, v26, v5, vcc
	v_cndmask_b32_e32 v5, v5, v26, vcc
	flat_store_dword v[12:13], v7
	flat_store_dword v[14:15], v5 offset:8
	s_waitcnt lgkmcnt(0)
	s_barrier
	flat_load_dwordx2 v[30:31], v[10:11]
	v_and_b32_e32 v5, 15, v6
	v_sub_u32_e32 v28, v8, v5
	v_lshl_add_u64 v[26:27], v[28:29], 2, v[16:17]
	v_ashrrev_i32_e32 v29, 31, v28
	v_lshl_add_u64 v[28:29], v[28:29], 2, v[16:17]
	s_waitcnt vmcnt(0) lgkmcnt(0)
	v_max_u32_e32 v5, v30, v31
	v_min_u32_e32 v7, v30, v31
	v_cndmask_b32_e32 v30, v5, v7, vcc
	v_cndmask_b32_e32 v31, v7, v5, vcc
	flat_store_dwordx2 v[10:11], v[30:31]
	s_waitcnt lgkmcnt(0)
	s_barrier
	flat_load_dword v5, v[26:27]
	flat_load_dword v7, v[28:29] offset:64
	v_and_b32_e32 v30, 16, v6
	v_cmp_eq_u32_e32 vcc, 0, v30
	s_waitcnt vmcnt(0) lgkmcnt(0)
	v_max_u32_e32 v31, v5, v7
	v_min_u32_e32 v5, v5, v7
	v_cndmask_b32_e32 v7, v31, v5, vcc
	v_cndmask_b32_e32 v5, v5, v31, vcc
	flat_store_dword v[26:27], v7
	flat_store_dword v[28:29], v5 offset:64
	s_waitcnt lgkmcnt(0)
	s_barrier
	flat_load_dword v5, v[22:23]
	flat_load_dword v7, v[24:25] offset:32
	s_waitcnt vmcnt(0) lgkmcnt(0)
	v_max_u32_e32 v30, v5, v7
	v_min_u32_e32 v5, v5, v7
	v_cndmask_b32_e32 v7, v30, v5, vcc
	v_cndmask_b32_e32 v5, v5, v30, vcc
	flat_store_dword v[22:23], v7
	flat_store_dword v[24:25], v5 offset:32
	s_waitcnt lgkmcnt(0)
	s_barrier
	flat_load_dword v5, v[18:19]
	flat_load_dword v7, v[20:21] offset:16
	;; [unrolled: 11-line block ×3, first 2 shown]
	s_waitcnt vmcnt(0) lgkmcnt(0)
	v_max_u32_e32 v30, v5, v7
	v_min_u32_e32 v5, v5, v7
	v_cndmask_b32_e32 v7, v30, v5, vcc
	v_cndmask_b32_e32 v5, v5, v30, vcc
	flat_store_dword v[12:13], v7
	flat_store_dword v[14:15], v5 offset:8
	s_waitcnt lgkmcnt(0)
	s_barrier
	flat_load_dwordx2 v[34:35], v[10:11]
	v_and_b32_e32 v5, 31, v6
	v_sub_u32_e32 v32, v8, v5
	v_lshl_add_u64 v[30:31], v[32:33], 2, v[16:17]
	v_ashrrev_i32_e32 v33, 31, v32
	v_lshl_add_u64 v[32:33], v[32:33], 2, v[16:17]
	s_waitcnt vmcnt(0) lgkmcnt(0)
	v_max_u32_e32 v5, v34, v35
	v_min_u32_e32 v7, v34, v35
	v_cndmask_b32_e32 v34, v5, v7, vcc
	v_cndmask_b32_e32 v35, v7, v5, vcc
	flat_store_dwordx2 v[10:11], v[34:35]
	s_waitcnt lgkmcnt(0)
	s_barrier
	flat_load_dword v5, v[30:31]
	flat_load_dword v7, v[32:33] offset:128
	v_and_b32_e32 v34, 32, v6
	v_cmp_eq_u32_e32 vcc, 0, v34
	s_waitcnt vmcnt(0) lgkmcnt(0)
	v_max_u32_e32 v35, v5, v7
	v_min_u32_e32 v5, v5, v7
	v_cndmask_b32_e32 v7, v35, v5, vcc
	v_cndmask_b32_e32 v5, v5, v35, vcc
	flat_store_dword v[30:31], v7
	flat_store_dword v[32:33], v5 offset:128
	s_waitcnt lgkmcnt(0)
	s_barrier
	flat_load_dword v5, v[26:27]
	flat_load_dword v7, v[28:29] offset:64
	s_waitcnt vmcnt(0) lgkmcnt(0)
	v_max_u32_e32 v34, v5, v7
	v_min_u32_e32 v5, v5, v7
	v_cndmask_b32_e32 v7, v34, v5, vcc
	v_cndmask_b32_e32 v5, v5, v34, vcc
	flat_store_dword v[26:27], v7
	flat_store_dword v[28:29], v5 offset:64
	s_waitcnt lgkmcnt(0)
	s_barrier
	flat_load_dword v5, v[22:23]
	flat_load_dword v7, v[24:25] offset:32
	;; [unrolled: 11-line block ×4, first 2 shown]
	s_waitcnt vmcnt(0) lgkmcnt(0)
	v_max_u32_e32 v34, v5, v7
	v_min_u32_e32 v5, v5, v7
	v_cndmask_b32_e32 v7, v34, v5, vcc
	v_cndmask_b32_e32 v5, v5, v34, vcc
	flat_store_dword v[12:13], v7
	flat_store_dword v[14:15], v5 offset:8
	s_waitcnt lgkmcnt(0)
	s_barrier
	flat_load_dwordx2 v[38:39], v[10:11]
	v_and_b32_e32 v5, 63, v6
	v_sub_u32_e32 v36, v8, v5
	v_lshl_add_u64 v[34:35], v[36:37], 2, v[16:17]
	v_ashrrev_i32_e32 v37, 31, v36
	v_lshl_add_u64 v[36:37], v[36:37], 2, v[16:17]
	s_waitcnt vmcnt(0) lgkmcnt(0)
	v_max_u32_e32 v5, v38, v39
	v_min_u32_e32 v7, v38, v39
	v_cndmask_b32_e32 v38, v5, v7, vcc
	v_cndmask_b32_e32 v39, v7, v5, vcc
	flat_store_dwordx2 v[10:11], v[38:39]
	s_waitcnt lgkmcnt(0)
	s_barrier
	flat_load_dword v5, v[34:35]
	flat_load_dword v7, v[36:37] offset:256
	v_and_b32_e32 v38, 64, v6
	v_cmp_eq_u32_e32 vcc, 0, v38
	s_waitcnt vmcnt(0) lgkmcnt(0)
	v_max_u32_e32 v39, v5, v7
	v_min_u32_e32 v5, v5, v7
	v_cndmask_b32_e32 v7, v39, v5, vcc
	v_cndmask_b32_e32 v5, v5, v39, vcc
	flat_store_dword v[34:35], v7
	flat_store_dword v[36:37], v5 offset:256
	s_waitcnt lgkmcnt(0)
	s_barrier
	flat_load_dword v5, v[30:31]
	flat_load_dword v7, v[32:33] offset:128
	s_waitcnt vmcnt(0) lgkmcnt(0)
	v_max_u32_e32 v38, v5, v7
	v_min_u32_e32 v5, v5, v7
	v_cndmask_b32_e32 v7, v38, v5, vcc
	v_cndmask_b32_e32 v5, v5, v38, vcc
	flat_store_dword v[30:31], v7
	flat_store_dword v[32:33], v5 offset:128
	s_waitcnt lgkmcnt(0)
	s_barrier
	flat_load_dword v5, v[26:27]
	flat_load_dword v7, v[28:29] offset:64
	;; [unrolled: 11-line block ×5, first 2 shown]
	s_waitcnt vmcnt(0) lgkmcnt(0)
	v_max_u32_e32 v38, v5, v7
	v_min_u32_e32 v5, v5, v7
	v_cndmask_b32_e32 v7, v38, v5, vcc
	v_cndmask_b32_e32 v5, v5, v38, vcc
	flat_store_dword v[12:13], v7
	flat_store_dword v[14:15], v5 offset:8
	s_waitcnt lgkmcnt(0)
	s_barrier
	flat_load_dwordx2 v[38:39], v[10:11]
	v_and_b32_e32 v5, 0x7f, v6
	v_sub_u32_e32 v8, v8, v5
	v_lshl_add_u64 v[48:49], v[8:9], 2, v[16:17]
	v_ashrrev_i32_e32 v51, 31, v8
	v_mov_b32_e32 v50, v8
	v_lshl_add_u64 v[16:17], v[50:51], 2, v[16:17]
	s_waitcnt vmcnt(0) lgkmcnt(0)
	v_max_u32_e32 v5, v38, v39
	v_min_u32_e32 v7, v38, v39
	v_cndmask_b32_e32 v38, v5, v7, vcc
	v_cndmask_b32_e32 v39, v7, v5, vcc
	flat_store_dwordx2 v[10:11], v[38:39]
	s_waitcnt lgkmcnt(0)
	s_barrier
	flat_load_dword v5, v[48:49]
	flat_load_dword v7, v[16:17] offset:512
	v_cmp_gt_u32_e32 vcc, s2, v6
	s_waitcnt vmcnt(0) lgkmcnt(0)
	v_min_u32_e32 v8, v5, v7
	v_max_u32_e32 v5, v5, v7
	flat_store_dword v[48:49], v8
	flat_store_dword v[16:17], v5 offset:512
	s_waitcnt lgkmcnt(0)
	s_barrier
	flat_load_dword v5, v[34:35]
	flat_load_dword v7, v[36:37] offset:256
	s_waitcnt vmcnt(0) lgkmcnt(0)
	v_min_u32_e32 v8, v5, v7
	v_max_u32_e32 v5, v5, v7
	flat_store_dword v[34:35], v8
	flat_store_dword v[36:37], v5 offset:256
	s_waitcnt lgkmcnt(0)
	s_barrier
	flat_load_dword v5, v[30:31]
	flat_load_dword v7, v[32:33] offset:128
	;; [unrolled: 9-line block ×6, first 2 shown]
	s_waitcnt vmcnt(0) lgkmcnt(0)
	v_min_u32_e32 v8, v5, v7
	v_max_u32_e32 v5, v5, v7
	flat_store_dword v[12:13], v8
	flat_store_dword v[14:15], v5 offset:8
	s_waitcnt lgkmcnt(0)
	s_barrier
	flat_load_dwordx2 v[12:13], v[10:11]
	s_waitcnt vmcnt(0) lgkmcnt(0)
	v_min_u32_e32 v14, v12, v13
	v_max_u32_e32 v15, v12, v13
	flat_store_dwordx2 v[10:11], v[14:15]
	s_waitcnt lgkmcnt(0)
	s_barrier
	s_and_saveexec_b64 s[2:3], vcc
	s_cbranch_execz .LBB1_21
; %bb.19:
	s_mov_b64 s[4:5], 0
.LBB1_20:                               ; =>This Inner Loop Header: Depth=1
	v_add_u32_e32 v8, v4, v6
	v_lshlrev_b64 v[10:11], 2, v[8:9]
	v_lshl_add_u64 v[12:13], v[0:1], 0, v[10:11]
	flat_load_dword v5, v[12:13]
	v_add_u32_e32 v7, 0x80, v6
	v_cmp_lt_u32_e32 vcc, s6, v6
	s_or_b64 s[4:5], vcc, s[4:5]
	v_mov_b32_e32 v6, v7
	v_lshl_add_u64 v[10:11], v[2:3], 0, v[10:11]
	s_waitcnt vmcnt(0) lgkmcnt(0)
	flat_store_dword v[10:11], v5
	s_andn2_b64 exec, exec, s[4:5]
	s_cbranch_execnz .LBB1_20
.LBB1_21:
	s_or_b64 exec, exec, s[2:3]
	s_or_b64 exec, exec, s[0:1]
	s_waitcnt vmcnt(0) lgkmcnt(0)
	s_setpc_b64 s[30:31]
.Lfunc_end1:
	.size	_Z14sort_thresholdIjEvPT_S1_jjS1_j, .Lfunc_end1-_Z14sort_thresholdIjEvPT_S1_jjS1_j
                                        ; -- End function
	.set .L_Z14sort_thresholdIjEvPT_S1_jjS1_j.num_vgpr, 52
	.set .L_Z14sort_thresholdIjEvPT_S1_jjS1_j.num_agpr, 0
	.set .L_Z14sort_thresholdIjEvPT_S1_jjS1_j.numbered_sgpr, 32
	.set .L_Z14sort_thresholdIjEvPT_S1_jjS1_j.num_named_barrier, 0
	.set .L_Z14sort_thresholdIjEvPT_S1_jjS1_j.private_seg_size, 0
	.set .L_Z14sort_thresholdIjEvPT_S1_jjS1_j.uses_vcc, 1
	.set .L_Z14sort_thresholdIjEvPT_S1_jjS1_j.uses_flat_scratch, 0
	.set .L_Z14sort_thresholdIjEvPT_S1_jjS1_j.has_dyn_sized_stack, 0
	.set .L_Z14sort_thresholdIjEvPT_S1_jjS1_j.has_recursion, 0
	.set .L_Z14sort_thresholdIjEvPT_S1_jjS1_j.has_indirect_call, 0
	.section	.AMDGPU.csdata,"",@progbits
; Function info:
; codeLenInByte = 4520
; TotalNumSgprs: 38
; NumVgprs: 52
; NumAgprs: 0
; TotalNumVgprs: 52
; ScratchSize: 0
; MemoryBound: 0
	.section	.text._Z13lqsort_kernelIjEvPT_S1_P11work_recordIS0_E,"axG",@progbits,_Z13lqsort_kernelIjEvPT_S1_P11work_recordIS0_E,comdat
	.protected	_Z13lqsort_kernelIjEvPT_S1_P11work_recordIS0_E ; -- Begin function _Z13lqsort_kernelIjEvPT_S1_P11work_recordIS0_E
	.globl	_Z13lqsort_kernelIjEvPT_S1_P11work_recordIS0_E
	.p2align	8
	.type	_Z13lqsort_kernelIjEvPT_S1_P11work_recordIS0_E,@function
_Z13lqsort_kernelIjEvPT_S1_P11work_recordIS0_E: ; @_Z13lqsort_kernelIjEvPT_S1_P11work_recordIS0_E
; %bb.0:
	s_mov_b64 s[12:13], s[0:1]
	s_load_dwordx2 s[0:1], s[0:1], 0x10
	s_mov_b32 s3, 0
	s_lshl_b64 s[2:3], s[2:3], 4
	s_load_dwordx4 s[36:39], s[12:13], 0x0
	v_mov_b32_e32 v40, v0
	s_waitcnt lgkmcnt(0)
	s_add_u32 s0, s0, s2
	s_addc_u32 s1, s1, s3
	v_mov_b32_e32 v0, 0
	global_load_dwordx2 v[2:3], v0, s[0:1]
	global_load_dword v4, v0, s[0:1] offset:12
	v_cmp_eq_u32_e64 s[14:15], 0, v40
	s_mov_b32 s32, 0
	s_waitcnt vmcnt(1)
	v_readfirstlane_b32 s34, v2
	s_nop 1
	v_subrev_u32_e32 v1, s34, v3
	s_and_saveexec_b64 s[0:1], s[14:15]
	s_cbranch_execz .LBB2_2
; %bb.1:
	v_mov_b32_e32 v2, 1
	ds_write_b32 v0, v0 offset:15364
	ds_write_b96 v0, v[0:2] offset:15904
.LBB2_2:
	s_or_b64 exec, exec, s[0:1]
	s_waitcnt vmcnt(0)
	v_cmp_eq_u32_e32 vcc, 1, v4
	v_cmp_lt_u32_e64 s[0:1], v40, v1
	s_mov_b64 s[2:3], -1
	s_cbranch_vccnz .LBB2_19
; %bb.3:
	s_and_saveexec_b64 s[2:3], s[0:1]
	s_cbranch_execz .LBB2_18
; %bb.4:
	v_xad_u32 v0, v40, -1, v3
	v_subrev_u32_e32 v2, s34, v0
	s_movk_i32 s4, 0xb80
	s_movk_i32 s6, 0xb7f
	v_cmp_gt_u32_e64 s[4:5], s4, v2
	v_cmp_lt_u32_e32 vcc, s6, v2
	v_mov_b32_e32 v0, v40
	s_and_saveexec_b64 s[6:7], vcc
	s_cbranch_execz .LBB2_15
; %bb.5:
	v_sub_u32_e32 v4, v40, v3
	v_add_u32_e32 v4, s34, v4
	v_add_u32_e32 v0, s34, v40
	v_or_b32_e32 v4, 0x7f, v4
	v_cmp_ge_u32_e32 vcc, v4, v0
	s_mov_b64 s[10:11], -1
	v_mov_b32_e32 v0, v40
	s_and_saveexec_b64 s[8:9], vcc
	s_cbranch_execz .LBB2_14
; %bb.6:
	v_lshrrev_b32_e32 v0, 7, v2
	v_add_u32_e32 v4, -1, v0
	v_add_u32_e32 v41, 0x80, v40
	v_lshrrev_b32_e32 v2, 1, v4
	v_add_u32_e32 v2, 1, v2
	v_cmp_lt_u32_e32 vcc, 13, v4
	v_mov_b32_e32 v6, 0
	v_mov_b64_e32 v[4:5], v[40:41]
	s_and_saveexec_b64 s[10:11], vcc
	s_cbranch_execz .LBB2_10
; %bb.7:
	s_add_i32 s18, s34, 0x100
	s_add_i32 s20, s34, 0x200
	;; [unrolled: 1-line block ×7, first 2 shown]
	v_and_b32_e32 v8, -8, v2
	s_mov_b32 s19, s18
	s_mov_b32 s21, s20
	;; [unrolled: 1-line block ×7, first 2 shown]
	v_lshlrev_b32_e32 v9, 2, v40
	s_mov_b32 s33, 0
	s_mov_b64 s[16:17], 0
	v_mov_b32_e32 v7, 0
	v_mov_b64_e32 v[4:5], v[40:41]
.LBB2_8:                                ; =>This Inner Loop Header: Depth=1
	v_add_u32_e32 v6, s34, v4
	v_add_u32_e32 v10, s34, v5
	v_mov_b32_e32 v11, v7
	v_lshl_add_u64 v[26:27], v[6:7], 2, s[38:39]
	v_add_u32_e32 v6, s18, v4
	v_add_u32_e32 v12, s19, v5
	v_mov_b32_e32 v13, v7
	v_lshl_add_u64 v[10:11], v[10:11], 2, s[38:39]
	v_lshl_add_u64 v[28:29], v[6:7], 2, s[38:39]
	v_add_u32_e32 v6, s20, v4
	v_lshl_add_u64 v[12:13], v[12:13], 2, s[38:39]
	global_load_dword v30, v[26:27], off
	global_load_dword v31, v[10:11], off
	;; [unrolled: 1-line block ×4, first 2 shown]
	v_lshl_add_u64 v[10:11], v[6:7], 2, s[38:39]
	v_add_u32_e32 v6, s22, v4
	v_add_u32_e32 v14, s21, v5
	v_mov_b32_e32 v15, v7
	v_add_u32_e32 v16, s23, v5
	v_mov_b32_e32 v17, v7
	v_lshl_add_u64 v[12:13], v[6:7], 2, s[38:39]
	v_add_u32_e32 v6, s24, v4
	v_lshl_add_u64 v[14:15], v[14:15], 2, s[38:39]
	v_lshl_add_u64 v[16:17], v[16:17], 2, s[38:39]
	global_load_dword v26, v[10:11], off
	global_load_dword v27, v[14:15], off
	;; [unrolled: 1-line block ×4, first 2 shown]
	v_lshl_add_u64 v[10:11], v[6:7], 2, s[38:39]
	v_add_u32_e32 v6, s26, v4
	v_add_u32_e32 v18, s25, v5
	v_mov_b32_e32 v19, v7
	v_add_u32_e32 v20, s27, v5
	v_mov_b32_e32 v21, v7
	v_lshl_add_u64 v[12:13], v[6:7], 2, s[38:39]
	v_add_u32_e32 v6, s28, v4
	v_add_u32_e32 v22, s29, v5
	v_mov_b32_e32 v23, v7
	v_add_u32_e32 v24, s31, v5
	v_mov_b32_e32 v25, v7
	v_lshl_add_u64 v[18:19], v[18:19], 2, s[38:39]
	v_lshl_add_u64 v[20:21], v[20:21], 2, s[38:39]
	global_load_dword v14, v[10:11], off
	global_load_dword v15, v[18:19], off
	;; [unrolled: 1-line block ×4, first 2 shown]
	v_lshl_add_u64 v[10:11], v[6:7], 2, s[38:39]
	v_add_u32_e32 v6, s30, v4
	v_lshl_add_u64 v[22:23], v[22:23], 2, s[38:39]
	v_lshl_add_u64 v[24:25], v[24:25], 2, s[38:39]
	v_lshl_add_u64 v[12:13], v[6:7], 2, s[38:39]
	global_load_dword v18, v[10:11], off
	global_load_dword v19, v[22:23], off
	;; [unrolled: 1-line block ×4, first 2 shown]
	v_add_u32_e32 v8, -8, v8
	s_add_i32 s33, s33, 16
	v_cmp_eq_u32_e32 vcc, 0, v8
	v_add_u32_e32 v5, 0x800, v5
	v_mov_b32_e32 v6, s33
	s_or_b64 s[16:17], vcc, s[16:17]
	v_add_u32_e32 v4, 0x800, v4
	s_waitcnt vmcnt(14)
	ds_write2st64_b32 v9, v30, v31 offset1:2
	s_waitcnt vmcnt(12)
	ds_write2st64_b32 v9, v32, v33 offset0:4 offset1:6
	s_waitcnt vmcnt(10)
	ds_write2st64_b32 v9, v26, v27 offset0:8 offset1:10
	;; [unrolled: 2-line block ×7, first 2 shown]
	v_add_u32_e32 v9, 0x2000, v9
	s_andn2_b64 exec, exec, s[16:17]
	s_cbranch_execnz .LBB2_8
; %bb.9:
	s_or_b64 exec, exec, s[16:17]
.LBB2_10:
	s_or_b64 exec, exec, s[10:11]
	v_and_b32_e32 v2, 7, v2
	v_cmp_ne_u32_e32 vcc, 0, v2
	s_and_saveexec_b64 s[10:11], vcc
	s_cbranch_execz .LBB2_13
; %bb.11:
	v_lshlrev_b32_e32 v7, 2, v40
	v_lshl_add_u32 v8, v6, 9, v7
	s_mov_b64 s[16:17], 0
	v_mov_b32_e32 v7, 0
.LBB2_12:                               ; =>This Inner Loop Header: Depth=1
	v_add_u32_e32 v6, s34, v4
	v_add_u32_e32 v10, s34, v5
	v_mov_b32_e32 v11, v7
	v_lshl_add_u64 v[12:13], v[6:7], 2, s[38:39]
	v_lshl_add_u64 v[10:11], v[10:11], 2, s[38:39]
	global_load_dword v6, v[12:13], off
	global_load_dword v9, v[10:11], off
	v_add_u32_e32 v2, -1, v2
	v_cmp_eq_u32_e32 vcc, 0, v2
	v_add_u32_e32 v5, 0x100, v5
	v_add_u32_e32 v4, 0x100, v4
	s_or_b64 s[16:17], vcc, s[16:17]
	s_waitcnt vmcnt(0)
	ds_write2st64_b32 v8, v6, v9 offset1:2
	v_add_u32_e32 v8, 0x400, v8
	s_andn2_b64 exec, exec, s[16:17]
	s_cbranch_execnz .LBB2_12
.LBB2_13:
	s_or_b64 exec, exec, s[10:11]
	v_add_u32_e32 v2, 1, v0
	v_and_b32_e32 v4, 0x3fffffe, v2
	v_cmp_ne_u32_e32 vcc, v2, v4
	v_lshl_add_u32 v0, v4, 7, v40
	s_orn2_b64 s[10:11], vcc, exec
.LBB2_14:
	s_or_b64 exec, exec, s[8:9]
	s_andn2_b64 s[4:5], s[4:5], exec
	s_and_b64 s[8:9], s[10:11], exec
	s_or_b64 s[4:5], s[4:5], s[8:9]
.LBB2_15:
	s_or_b64 exec, exec, s[6:7]
	s_and_b64 exec, exec, s[4:5]
	s_cbranch_execz .LBB2_18
; %bb.16:
	v_lshlrev_b32_e32 v2, 2, v0
	s_mov_b64 s[4:5], 0
	v_mov_b32_e32 v5, 0
.LBB2_17:                               ; =>This Inner Loop Header: Depth=1
	v_add_u32_e32 v4, s34, v0
	v_lshl_add_u64 v[6:7], v[4:5], 2, s[38:39]
	global_load_dword v4, v[6:7], off
	v_add_u32_e32 v0, 0x80, v0
	v_cmp_ge_u32_e32 vcc, v0, v1
	s_or_b64 s[4:5], vcc, s[4:5]
	s_waitcnt vmcnt(0)
	ds_write_b32 v2, v4
	v_add_u32_e32 v2, 0x200, v2
	s_andn2_b64 exec, exec, s[4:5]
	s_cbranch_execnz .LBB2_17
.LBB2_18:
	s_or_b64 exec, exec, s[2:3]
	s_mov_b64 s[2:3], 0
.LBB2_19:
	s_andn2_b64 vcc, exec, s[2:3]
	s_cbranch_vccnz .LBB2_36
; %bb.20:
	s_and_saveexec_b64 s[2:3], s[0:1]
	s_cbranch_execz .LBB2_35
; %bb.21:
	v_xad_u32 v0, v40, -1, v3
	v_subrev_u32_e32 v2, s34, v0
	s_movk_i32 s0, 0xb80
	s_movk_i32 s4, 0xb7f
	v_cmp_gt_u32_e64 s[0:1], s0, v2
	v_cmp_lt_u32_e32 vcc, s4, v2
	v_mov_b32_e32 v0, v40
	s_and_saveexec_b64 s[4:5], vcc
	s_cbranch_execz .LBB2_32
; %bb.22:
	v_sub_u32_e32 v3, v40, v3
	v_add_u32_e32 v3, s34, v3
	v_add_u32_e32 v0, s34, v40
	v_or_b32_e32 v3, 0x7f, v3
	v_cmp_ge_u32_e32 vcc, v3, v0
	s_mov_b64 s[8:9], -1
	v_mov_b32_e32 v0, v40
	s_and_saveexec_b64 s[6:7], vcc
	s_cbranch_execz .LBB2_31
; %bb.23:
	v_lshrrev_b32_e32 v0, 7, v2
	v_add_u32_e32 v2, -1, v0
	v_add_u32_e32 v41, 0x80, v40
	v_lshrrev_b32_e32 v3, 1, v2
	v_add_u32_e32 v6, 1, v3
	v_cmp_lt_u32_e32 vcc, 13, v2
	v_mov_b32_e32 v4, 0
	v_mov_b64_e32 v[2:3], v[40:41]
	s_and_saveexec_b64 s[8:9], vcc
	s_cbranch_execz .LBB2_27
; %bb.24:
	s_add_i32 s16, s34, 0x100
	s_add_i32 s18, s34, 0x200
	;; [unrolled: 1-line block ×7, first 2 shown]
	v_and_b32_e32 v7, -8, v6
	s_mov_b32 s17, s16
	s_mov_b32 s19, s18
	;; [unrolled: 1-line block ×7, first 2 shown]
	v_lshlrev_b32_e32 v8, 2, v40
	s_mov_b32 s30, 0
	s_mov_b64 s[10:11], 0
	v_mov_b32_e32 v5, 0
	v_mov_b64_e32 v[2:3], v[40:41]
.LBB2_25:                               ; =>This Inner Loop Header: Depth=1
	v_add_u32_e32 v4, s34, v2
	v_add_u32_e32 v10, s34, v3
	v_mov_b32_e32 v11, v5
	v_lshl_add_u64 v[26:27], v[4:5], 2, s[36:37]
	v_add_u32_e32 v4, s16, v2
	v_add_u32_e32 v12, s17, v3
	v_mov_b32_e32 v13, v5
	v_lshl_add_u64 v[10:11], v[10:11], 2, s[36:37]
	v_lshl_add_u64 v[28:29], v[4:5], 2, s[36:37]
	v_add_u32_e32 v4, s18, v2
	v_lshl_add_u64 v[12:13], v[12:13], 2, s[36:37]
	global_load_dword v9, v[26:27], off
	global_load_dword v30, v[10:11], off
	global_load_dword v31, v[28:29], off
	global_load_dword v32, v[12:13], off
	v_lshl_add_u64 v[10:11], v[4:5], 2, s[36:37]
	v_add_u32_e32 v4, s20, v2
	v_add_u32_e32 v14, s19, v3
	v_mov_b32_e32 v15, v5
	v_add_u32_e32 v16, s21, v3
	v_mov_b32_e32 v17, v5
	v_lshl_add_u64 v[12:13], v[4:5], 2, s[36:37]
	v_add_u32_e32 v4, s22, v2
	v_lshl_add_u64 v[14:15], v[14:15], 2, s[36:37]
	v_lshl_add_u64 v[16:17], v[16:17], 2, s[36:37]
	global_load_dword v26, v[10:11], off
	global_load_dword v27, v[14:15], off
	global_load_dword v28, v[12:13], off
	global_load_dword v29, v[16:17], off
	v_lshl_add_u64 v[10:11], v[4:5], 2, s[36:37]
	v_add_u32_e32 v4, s24, v2
	v_add_u32_e32 v18, s23, v3
	v_mov_b32_e32 v19, v5
	v_add_u32_e32 v20, s25, v3
	v_mov_b32_e32 v21, v5
	v_lshl_add_u64 v[12:13], v[4:5], 2, s[36:37]
	v_add_u32_e32 v4, s26, v2
	v_add_u32_e32 v22, s27, v3
	v_mov_b32_e32 v23, v5
	v_add_u32_e32 v24, s29, v3
	v_mov_b32_e32 v25, v5
	v_lshl_add_u64 v[18:19], v[18:19], 2, s[36:37]
	v_lshl_add_u64 v[20:21], v[20:21], 2, s[36:37]
	global_load_dword v14, v[10:11], off
	global_load_dword v15, v[18:19], off
	global_load_dword v16, v[12:13], off
	global_load_dword v17, v[20:21], off
	v_lshl_add_u64 v[10:11], v[4:5], 2, s[36:37]
	v_add_u32_e32 v4, s28, v2
	v_lshl_add_u64 v[22:23], v[22:23], 2, s[36:37]
	v_lshl_add_u64 v[24:25], v[24:25], 2, s[36:37]
	;; [unrolled: 1-line block ×3, first 2 shown]
	global_load_dword v18, v[10:11], off
	global_load_dword v19, v[22:23], off
	;; [unrolled: 1-line block ×4, first 2 shown]
	v_add_u32_e32 v7, -8, v7
	s_add_i32 s30, s30, 16
	v_cmp_eq_u32_e32 vcc, 0, v7
	v_add_u32_e32 v3, 0x800, v3
	v_mov_b32_e32 v4, s30
	s_or_b64 s[10:11], vcc, s[10:11]
	v_add_u32_e32 v2, 0x800, v2
	s_waitcnt vmcnt(14)
	ds_write2st64_b32 v8, v9, v30 offset1:2
	s_waitcnt vmcnt(12)
	ds_write2st64_b32 v8, v31, v32 offset0:4 offset1:6
	s_waitcnt vmcnt(10)
	ds_write2st64_b32 v8, v26, v27 offset0:8 offset1:10
	;; [unrolled: 2-line block ×7, first 2 shown]
	v_add_u32_e32 v8, 0x2000, v8
	s_andn2_b64 exec, exec, s[10:11]
	s_cbranch_execnz .LBB2_25
; %bb.26:
	s_or_b64 exec, exec, s[10:11]
.LBB2_27:
	s_or_b64 exec, exec, s[8:9]
	v_and_b32_e32 v6, 7, v6
	v_cmp_ne_u32_e32 vcc, 0, v6
	s_and_saveexec_b64 s[8:9], vcc
	s_cbranch_execz .LBB2_30
; %bb.28:
	v_lshlrev_b32_e32 v5, 2, v40
	v_lshl_add_u32 v7, v4, 9, v5
	s_mov_b64 s[10:11], 0
	v_mov_b32_e32 v5, 0
.LBB2_29:                               ; =>This Inner Loop Header: Depth=1
	v_add_u32_e32 v4, s34, v2
	v_add_u32_e32 v8, s34, v3
	v_mov_b32_e32 v9, v5
	v_lshl_add_u64 v[10:11], v[4:5], 2, s[36:37]
	v_lshl_add_u64 v[8:9], v[8:9], 2, s[36:37]
	global_load_dword v4, v[10:11], off
	global_load_dword v12, v[8:9], off
	v_add_u32_e32 v6, -1, v6
	v_cmp_eq_u32_e32 vcc, 0, v6
	v_add_u32_e32 v3, 0x100, v3
	v_add_u32_e32 v2, 0x100, v2
	s_or_b64 s[10:11], vcc, s[10:11]
	s_waitcnt vmcnt(0)
	ds_write2st64_b32 v7, v4, v12 offset1:2
	v_add_u32_e32 v7, 0x400, v7
	s_andn2_b64 exec, exec, s[10:11]
	s_cbranch_execnz .LBB2_29
.LBB2_30:
	s_or_b64 exec, exec, s[8:9]
	v_add_u32_e32 v2, 1, v0
	v_and_b32_e32 v3, 0x3fffffe, v2
	v_cmp_ne_u32_e32 vcc, v2, v3
	v_lshl_add_u32 v0, v3, 7, v40
	s_orn2_b64 s[8:9], vcc, exec
.LBB2_31:
	s_or_b64 exec, exec, s[6:7]
	s_andn2_b64 s[0:1], s[0:1], exec
	s_and_b64 s[6:7], s[8:9], exec
	s_or_b64 s[0:1], s[0:1], s[6:7]
.LBB2_32:
	s_or_b64 exec, exec, s[4:5]
	s_and_b64 exec, exec, s[0:1]
	s_cbranch_execz .LBB2_35
; %bb.33:
	v_lshlrev_b32_e32 v4, 2, v0
	s_mov_b64 s[0:1], 0
	v_mov_b32_e32 v3, 0
.LBB2_34:                               ; =>This Inner Loop Header: Depth=1
	v_add_u32_e32 v2, s34, v0
	v_lshl_add_u64 v[6:7], v[2:3], 2, s[36:37]
	global_load_dword v2, v[6:7], off
	v_add_u32_e32 v0, 0x80, v0
	v_cmp_ge_u32_e32 vcc, v0, v1
	s_or_b64 s[0:1], vcc, s[0:1]
	s_waitcnt vmcnt(0)
	ds_write_b32 v4, v2
	v_add_u32_e32 v4, 0x200, v4
	s_andn2_b64 exec, exec, s[0:1]
	s_cbranch_execnz .LBB2_34
.LBB2_35:
	s_or_b64 exec, exec, s[2:3]
.LBB2_36:
	v_mov_b32_e32 v45, 0
	s_waitcnt lgkmcnt(0)
	s_barrier
	ds_read_b32 v0, v45 offset:15364
	s_mov_b32 s35, 0
	s_waitcnt lgkmcnt(0)
	v_cmp_gt_i32_e32 vcc, 0, v0
	s_cbranch_vccnz .LBB2_114
; %bb.37:
	v_and_b32_e32 v2, 1, v40
	v_cmp_eq_u32_e64 s[16:17], 1, v2
	v_and_b32_e32 v2, 3, v40
	v_cmp_eq_u32_e64 s[18:19], 3, v2
	;; [unrolled: 2-line block ×3, first 2 shown]
	v_and_b32_e32 v2, 15, v40
	s_lshl_b64 s[0:1], s[34:35], 2
	v_cmp_eq_u32_e64 s[22:23], 15, v2
	v_and_b32_e32 v2, 31, v40
	s_add_u32 s33, s36, s0
	s_movk_i32 s0, 0x3c00
	v_cmp_eq_u32_e64 s[24:25], 31, v2
	v_and_b32_e32 v2, 63, v40
	s_mov_b64 s[38:39], src_shared_base
	v_lshlrev_b32_e32 v1, 2, v40
	s_addc_u32 s35, s37, s1
	v_cmp_eq_u32_e64 s[26:27], 63, v2
	s_movk_i32 s1, 0x7f
	v_and_b32_e32 v2, 0x7f, v40
	v_add_u32_e64 v68, s0, 0
	s_movk_i32 s0, 0x3800
	v_add_u32_e32 v41, 0x3a00, v1
	v_add_u32_e32 v46, 0x3c10, v1
	;; [unrolled: 1-line block ×14, first 2 shown]
	v_cmp_eq_u32_e64 s[28:29], s1, v2
	v_add_u32_e32 v63, 0x3b10, v1
	v_add_u32_e32 v64, 0x3900, v1
	;; [unrolled: 1-line block ×3, first 2 shown]
	v_not_b32_e32 v66, v40
	s_mov_b32 s38, s34
	v_mov_b32_e32 v67, 0x1b00
	s_movk_i32 s40, 0x780
	s_movk_i32 s41, 0x77f
	;; [unrolled: 1-line block ×5, first 2 shown]
	v_add_u32_e64 v69, s0, 0
	s_branch .LBB2_39
.LBB2_38:                               ;   in Loop: Header=BB2_39 Depth=1
	ds_read_b32 v0, v45 offset:15364
	s_waitcnt lgkmcnt(0)
	v_cmp_lt_i32_e32 vcc, -1, v0
	s_cbranch_vccz .LBB2_114
.LBB2_39:                               ; =>This Loop Header: Depth=1
                                        ;     Child Loop BB2_47 Depth 2
                                        ;     Child Loop BB2_52 Depth 2
	;; [unrolled: 1-line block ×5, first 2 shown]
	v_mul_lo_u32 v0, v0, 12
	v_add_u32_e32 v1, 0x3e20, v0
	ds_read2_b32 v[42:43], v1 offset1:1
	ds_read_b32 v70, v0 offset:15912
	s_waitcnt lgkmcnt(0)
	s_barrier
	s_and_saveexec_b64 s[0:1], s[14:15]
	s_cbranch_execz .LBB2_41
; %bb.40:                               ;   in Loop: Header=BB2_39 Depth=1
	ds_read_b32 v0, v45 offset:15364
	s_waitcnt lgkmcnt(0)
	v_add_u32_e32 v0, -1, v0
	ds_write2_b32 v68, v0, v45 offset0:1 offset1:133
	ds_write_b32 v45, v45 offset:15976
.LBB2_41:                               ;   in Loop: Header=BB2_39 Depth=1
	s_or_b64 exec, exec, s[0:1]
	v_cmp_eq_u32_e32 vcc, 1, v70
	v_mov_b32_e32 v1, s39
	v_mov_b32_e32 v3, s39
	v_cndmask_b32_e64 v0, v67, 0, vcc
	v_cndmask_b32_e32 v2, 0, v67, vcc
	ds_write2_b64 v69, v[0:1], v[2:3] offset0:129 offset1:195
	ds_write_b32 v41, v45
	ds_write_b32 v46, v45
	s_waitcnt lgkmcnt(0)
	s_barrier
	ds_read_b64 v[0:1], v45 offset:15368
	v_mov_b32_e32 v44, v42
	v_lshlrev_b64 v[2:3], 2, v[44:45]
	v_cmp_ge_u32_e32 vcc, v42, v43
	s_and_b64 vcc, exec, vcc
	s_waitcnt lgkmcnt(0)
	v_lshl_add_u64 v[2:3], v[0:1], 0, v[2:3]
	s_waitcnt vmcnt(0)
	flat_load_dword v4, v[2:3]
	s_cbranch_vccnz .LBB2_43
; %bb.42:                               ;   in Loop: Header=BB2_39 Depth=1
	v_add_u32_e32 v2, v43, v42
	v_lshrrev_b32_e32 v44, 1, v2
	v_lshlrev_b64 v[2:3], 2, v[44:45]
	v_lshl_add_u64 v[2:3], v[0:1], 0, v[2:3]
	v_add_u32_e32 v44, -1, v43
	flat_load_dword v5, v[2:3]
	v_lshlrev_b64 v[2:3], 2, v[44:45]
	v_lshl_add_u64 v[2:3], v[0:1], 0, v[2:3]
	flat_load_dword v2, v[2:3]
	s_waitcnt vmcnt(0) lgkmcnt(0)
	v_max_u32_e32 v3, v4, v5
	v_min_u32_e32 v4, v4, v5
	v_max_u32_e32 v4, v4, v2
	v_cmp_lt_u32_e32 vcc, v3, v2
	s_nop 1
	v_cndmask_b32_e32 v4, v4, v3, vcc
.LBB2_43:                               ;   in Loop: Header=BB2_39 Depth=1
	v_add_u32_e32 v6, v42, v40
	v_cmp_lt_u32_e32 vcc, v6, v43
	v_mov_b32_e32 v2, 0
	v_mov_b32_e32 v3, 0
	s_and_saveexec_b64 s[2:3], vcc
	s_cbranch_execz .LBB2_55
; %bb.44:                               ;   in Loop: Header=BB2_39 Depth=1
	v_add_u32_e32 v2, v65, v42
	v_max_u32_e32 v7, v43, v2
	v_add_u32_e32 v2, v7, v66
	v_sub_u32_e32 v5, v2, v42
	v_cmp_gt_u32_e64 s[4:5], s40, v5
	v_cmp_lt_u32_e64 s[0:1], s41, v5
	v_mov_b32_e32 v2, 0
	v_mov_b32_e32 v3, 0
	;; [unrolled: 1-line block ×3, first 2 shown]
	s_and_saveexec_b64 s[6:7], s[0:1]
	s_cbranch_execz .LBB2_50
; %bb.45:                               ;   in Loop: Header=BB2_39 Depth=1
	v_sub_u32_e32 v2, v40, v7
	v_add_u32_e32 v2, v2, v42
	v_or_b32_e32 v2, 0x7f, v2
	v_cmp_ge_u32_e64 s[0:1], v2, v6
	s_mov_b64 s[10:11], -1
	v_mov_b32_e32 v2, 0
	v_mov_b32_e32 v3, 0
	;; [unrolled: 1-line block ×3, first 2 shown]
	s_and_saveexec_b64 s[8:9], s[0:1]
	s_cbranch_execz .LBB2_49
; %bb.46:                               ;   in Loop: Header=BB2_39 Depth=1
	v_lshrrev_b32_e32 v2, 7, v5
	v_add_u32_e32 v5, 1, v2
	v_and_b32_e32 v10, 0x3fffffe, v5
	v_add_u32_e32 v7, 0x80, v6
	s_waitcnt vmcnt(0) lgkmcnt(0)
	v_mov_b32_e32 v3, v4
	v_mov_b32_e32 v2, 0
	s_mov_b64 s[10:11], 0
	v_mov_b32_e32 v12, v10
	v_mov_b64_e32 v[8:9], v[6:7]
	v_mov_b32_e32 v7, 0
	v_mov_b32_e32 v11, 0
	;; [unrolled: 1-line block ×3, first 2 shown]
.LBB2_47:                               ;   Parent Loop BB2_39 Depth=1
                                        ; =>  This Inner Loop Header: Depth=2
	v_mov_b32_e32 v44, v8
	v_lshl_add_u64 v[14:15], v[44:45], 2, v[0:1]
	flat_load_dword v16, v[14:15]
	v_mov_b32_e32 v44, v9
	v_lshl_add_u64 v[14:15], v[44:45], 2, v[0:1]
	flat_load_dword v14, v[14:15]
	v_add_u32_e32 v12, -2, v12
	v_cmp_eq_u32_e64 s[0:1], 0, v12
	s_or_b64 s[10:11], s[0:1], s[10:11]
	v_add_u32_e32 v8, 0x100, v8
	v_add_u32_e32 v9, 0x100, v9
	s_waitcnt vmcnt(0) lgkmcnt(0)
	v_cmp_lt_u32_e64 s[0:1], v16, v4
	s_nop 1
	v_addc_co_u32_e64 v2, s[0:1], 0, v2, s[0:1]
	v_cmp_gt_u32_e64 s[0:1], v16, v4
	s_nop 1
	v_addc_co_u32_e64 v11, s[0:1], 0, v11, s[0:1]
	v_cmp_lt_u32_e64 s[0:1], v14, v3
	s_nop 1
	v_addc_co_u32_e64 v7, s[0:1], 0, v7, s[0:1]
	v_cmp_gt_u32_e64 s[0:1], v14, v3
	s_nop 1
	v_addc_co_u32_e64 v13, s[0:1], 0, v13, s[0:1]
	s_andn2_b64 exec, exec, s[10:11]
	s_cbranch_execnz .LBB2_47
; %bb.48:                               ;   in Loop: Header=BB2_39 Depth=1
	s_or_b64 exec, exec, s[10:11]
	v_cmp_ne_u32_e64 s[0:1], v5, v10
	v_lshl_add_u32 v44, v10, 7, v6
	v_add_u32_e32 v3, v2, v7
	v_add_u32_e32 v2, v11, v13
	s_orn2_b64 s[10:11], s[0:1], exec
.LBB2_49:                               ;   in Loop: Header=BB2_39 Depth=1
	s_or_b64 exec, exec, s[8:9]
	s_andn2_b64 s[0:1], s[4:5], exec
	s_and_b64 s[4:5], s[10:11], exec
	s_or_b64 s[4:5], s[0:1], s[4:5]
.LBB2_50:                               ;   in Loop: Header=BB2_39 Depth=1
	s_or_b64 exec, exec, s[6:7]
	s_and_saveexec_b64 s[6:7], s[4:5]
	s_cbranch_execz .LBB2_54
; %bb.51:                               ;   in Loop: Header=BB2_39 Depth=1
	s_mov_b64 s[4:5], 0
.LBB2_52:                               ;   Parent Loop BB2_39 Depth=1
                                        ; =>  This Inner Loop Header: Depth=2
	v_lshl_add_u64 v[8:9], v[44:45], 2, v[0:1]
	flat_load_dword v5, v[8:9]
	v_add_u32_e32 v44, 0x80, v44
	v_cmp_ge_u32_e64 s[0:1], v44, v43
	s_or_b64 s[4:5], s[0:1], s[4:5]
	s_waitcnt vmcnt(0) lgkmcnt(0)
	v_cmp_lt_u32_e64 s[0:1], v5, v4
	s_nop 1
	v_addc_co_u32_e64 v3, s[0:1], 0, v3, s[0:1]
	v_cmp_gt_u32_e64 s[0:1], v5, v4
	s_nop 1
	v_addc_co_u32_e64 v2, s[0:1], 0, v2, s[0:1]
	s_andn2_b64 exec, exec, s[4:5]
	s_cbranch_execnz .LBB2_52
; %bb.53:                               ;   in Loop: Header=BB2_39 Depth=1
	s_or_b64 exec, exec, s[4:5]
.LBB2_54:                               ;   in Loop: Header=BB2_39 Depth=1
	s_or_b64 exec, exec, s[6:7]
.LBB2_55:                               ;   in Loop: Header=BB2_39 Depth=1
	s_or_b64 exec, exec, s[2:3]
	ds_write_b32 v46, v3
	ds_write_b32 v41, v2
	s_waitcnt lgkmcnt(0)
	s_barrier
	s_and_saveexec_b64 s[0:1], s[16:17]
	s_cbranch_execz .LBB2_57
; %bb.56:                               ;   in Loop: Header=BB2_39 Depth=1
	ds_read2_b32 v[0:1], v47 offset1:1
	ds_read2_b32 v[2:3], v52 offset1:1
	s_waitcnt lgkmcnt(0)
	v_add_u32_e32 v0, v1, v0
	v_add_u32_e32 v1, v3, v2
	ds_write_b32 v46, v0
	ds_write_b32 v41, v1
.LBB2_57:                               ;   in Loop: Header=BB2_39 Depth=1
	s_or_b64 exec, exec, s[0:1]
	s_waitcnt lgkmcnt(0)
	s_barrier
	s_and_saveexec_b64 s[0:1], s[18:19]
	s_cbranch_execz .LBB2_59
; %bb.58:                               ;   in Loop: Header=BB2_39 Depth=1
	ds_read_b32 v0, v53
	ds_read_b32 v1, v54
	ds_read_b32 v2, v46
	ds_read_b32 v3, v41
	s_waitcnt lgkmcnt(0)
	v_add_u32_e32 v0, v2, v0
	v_add_u32_e32 v1, v3, v1
	ds_write_b32 v46, v0
	ds_write_b32 v41, v1
.LBB2_59:                               ;   in Loop: Header=BB2_39 Depth=1
	s_or_b64 exec, exec, s[0:1]
	s_waitcnt lgkmcnt(0)
	s_barrier
	s_and_saveexec_b64 s[0:1], s[20:21]
	s_cbranch_execz .LBB2_61
; %bb.60:                               ;   in Loop: Header=BB2_39 Depth=1
	ds_read_b32 v0, v55
	ds_read_b32 v1, v56
	ds_read_b32 v2, v46
	ds_read_b32 v3, v41
	s_waitcnt lgkmcnt(0)
	v_add_u32_e32 v0, v2, v0
	v_add_u32_e32 v1, v3, v1
	ds_write_b32 v46, v0
	ds_write_b32 v41, v1
.LBB2_61:                               ;   in Loop: Header=BB2_39 Depth=1
	;; [unrolled: 16-line block ×6, first 2 shown]
	s_or_b64 exec, exec, s[0:1]
	s_waitcnt lgkmcnt(0)
	s_barrier
	s_and_saveexec_b64 s[0:1], s[28:29]
	s_cbranch_execz .LBB2_71
; %bb.70:                               ;   in Loop: Header=BB2_39 Depth=1
	ds_read_b32 v0, v46
	ds_read_b32 v1, v41
	s_waitcnt lgkmcnt(0)
	ds_write_b32 v45, v0 offset:15976
	ds_write_b64 v45, v[0:1] offset:15888
	ds_write_b32 v45, v1 offset:15360
	ds_write_b32 v46, v45
	ds_write_b32 v41, v45
.LBB2_71:                               ;   in Loop: Header=BB2_39 Depth=1
	s_or_b64 exec, exec, s[0:1]
	s_and_saveexec_b64 s[0:1], s[28:29]
	s_cbranch_execz .LBB2_73
; %bb.72:                               ;   in Loop: Header=BB2_39 Depth=1
	ds_read_b32 v0, v64
	ds_read_b32 v1, v46
	ds_read_b32 v2, v63
	ds_read_b32 v3, v41
	s_waitcnt lgkmcnt(0)
	ds_write_b32 v63, v1
	v_add_u32_e32 v1, v1, v2
	v_add_u32_e32 v0, v3, v0
	ds_write_b32 v46, v1
	ds_write_b32 v64, v3
	ds_write_b32 v41, v0
.LBB2_73:                               ;   in Loop: Header=BB2_39 Depth=1
	s_or_b64 exec, exec, s[0:1]
	s_waitcnt lgkmcnt(0)
	s_barrier
	s_and_saveexec_b64 s[0:1], s[26:27]
	s_cbranch_execz .LBB2_75
; %bb.74:                               ;   in Loop: Header=BB2_39 Depth=1
	ds_read_b32 v0, v62
	ds_read_b32 v1, v46
	ds_read_b32 v2, v61
	ds_read_b32 v3, v41
	s_waitcnt lgkmcnt(0)
	ds_write_b32 v61, v1
	v_add_u32_e32 v1, v1, v2
	v_add_u32_e32 v0, v3, v0
	ds_write_b32 v46, v1
	ds_write_b32 v62, v3
	ds_write_b32 v41, v0
.LBB2_75:                               ;   in Loop: Header=BB2_39 Depth=1
	s_or_b64 exec, exec, s[0:1]
	s_waitcnt lgkmcnt(0)
	s_barrier
	;; [unrolled: 18-line block ×6, first 2 shown]
	s_and_saveexec_b64 s[0:1], s[16:17]
	s_cbranch_execz .LBB2_85
; %bb.84:                               ;   in Loop: Header=BB2_39 Depth=1
	ds_read2_b32 v[0:1], v47 offset1:1
	ds_read2_b32 v[2:3], v52 offset1:1
	s_waitcnt lgkmcnt(0)
	v_add_u32_e32 v0, v1, v0
	v_add_u32_e32 v2, v3, v2
	ds_write2_b32 v47, v1, v0 offset1:1
	ds_write2_b32 v52, v3, v2 offset1:1
.LBB2_85:                               ;   in Loop: Header=BB2_39 Depth=1
	s_or_b64 exec, exec, s[0:1]
	s_waitcnt lgkmcnt(0)
	s_barrier
	s_and_saveexec_b64 s[0:1], vcc
	s_cbranch_execz .LBB2_92
; %bb.86:                               ;   in Loop: Header=BB2_39 Depth=1
	ds_read_b32 v5, v41 offset:4
	ds_read_b32 v7, v46
	ds_read2_b64 v[0:3], v69 offset0:129 offset1:195
	s_mov_b64 s[2:3], 0
	v_mov_b32_e32 v44, v6
	s_waitcnt lgkmcnt(0)
	v_sub_u32_e32 v8, v43, v5
	v_add_u32_e32 v10, v7, v42
	s_branch .LBB2_88
.LBB2_87:                               ;   in Loop: Header=BB2_88 Depth=2
	s_or_b64 exec, exec, s[4:5]
	v_add_u32_e32 v44, 0x80, v44
	v_cmp_ge_u32_e32 vcc, v44, v43
	s_or_b64 s[2:3], vcc, s[2:3]
	s_andn2_b64 exec, exec, s[2:3]
	s_cbranch_execz .LBB2_92
.LBB2_88:                               ;   Parent Loop BB2_39 Depth=1
                                        ; =>  This Inner Loop Header: Depth=2
	v_lshl_add_u64 v[12:13], v[44:45], 2, v[0:1]
	flat_load_dword v5, v[12:13]
	s_waitcnt vmcnt(0) lgkmcnt(0)
	v_cmp_lt_u32_e32 vcc, v5, v4
	s_and_saveexec_b64 s[4:5], vcc
	s_cbranch_execz .LBB2_90
; %bb.89:                               ;   in Loop: Header=BB2_88 Depth=2
	v_mov_b32_e32 v11, v45
	v_add_u32_e32 v7, 1, v10
	v_lshl_add_u64 v[10:11], v[10:11], 2, v[2:3]
	flat_store_dword v[10:11], v5
	v_mov_b32_e32 v10, v7
.LBB2_90:                               ;   in Loop: Header=BB2_88 Depth=2
	s_or_b64 exec, exec, s[4:5]
	v_cmp_gt_u32_e32 vcc, v5, v4
	s_and_saveexec_b64 s[4:5], vcc
	s_cbranch_execz .LBB2_87
; %bb.91:                               ;   in Loop: Header=BB2_88 Depth=2
	v_mov_b32_e32 v9, v45
	v_add_u32_e32 v7, 1, v8
	v_lshl_add_u64 v[8:9], v[8:9], 2, v[2:3]
	flat_store_dword v[8:9], v5
	v_mov_b32_e32 v8, v7
	s_branch .LBB2_87
.LBB2_92:                               ;   in Loop: Header=BB2_39 Depth=1
	s_or_b64 exec, exec, s[0:1]
	s_waitcnt lgkmcnt(0)
	s_barrier
	ds_read2_b32 v[2:3], v68 offset0:133 offset1:154
	s_waitcnt lgkmcnt(0)
	v_add_u32_e32 v0, v6, v3
	v_sub_u32_e32 v5, v43, v2
	v_cmp_lt_u32_e32 vcc, v0, v5
	s_and_saveexec_b64 s[0:1], vcc
	s_cbranch_execz .LBB2_102
; %bb.93:                               ;   in Loop: Header=BB2_39 Depth=1
	v_add_u32_e32 v2, v42, v3
	v_add_u32_e32 v1, v2, v65
	v_max_u32_e32 v3, v1, v5
	v_add_u32_e32 v1, v3, v66
	v_sub_u32_e32 v1, v1, v2
	v_cmp_gt_u32_e64 s[2:3], s43, v1
	v_cmp_lt_u32_e32 vcc, s44, v1
	s_and_saveexec_b64 s[4:5], vcc
	s_cbranch_execz .LBB2_99
; %bb.94:                               ;   in Loop: Header=BB2_39 Depth=1
	v_sub_u32_e32 v3, v40, v3
	v_add_u32_e32 v2, v3, v2
	v_add_u32_e32 v6, s34, v0
	v_or_b32_e32 v2, 0x7f, v2
	v_cmp_ge_u32_e32 vcc, v2, v6
	s_mov_b64 s[8:9], -1
	s_and_saveexec_b64 s[6:7], vcc
	s_cbranch_execz .LBB2_98
; %bb.95:                               ;   in Loop: Header=BB2_39 Depth=1
	v_lshrrev_b32_e32 v1, 7, v1
	v_add_u32_e32 v6, 1, v1
	v_and_b32_e32 v7, 0x3fffffe, v6
	v_add_u32_e32 v1, 0x80, v0
	s_mov_b64 s[8:9], 0
	v_mov_b32_e32 v8, v7
	v_mov_b64_e32 v[2:3], v[0:1]
	s_waitcnt vmcnt(0)
.LBB2_96:                               ;   Parent Loop BB2_39 Depth=1
                                        ; =>  This Inner Loop Header: Depth=2
	v_add_u32_e32 v8, -2, v8
	v_add_u32_e32 v10, s38, v3
	v_add_u32_e32 v44, s34, v2
	v_mov_b32_e32 v11, v45
	v_cmp_eq_u32_e32 vcc, 0, v8
	v_add_u32_e32 v3, 0x100, v3
	v_add_u32_e32 v2, 0x100, v2
	v_lshl_add_u64 v[12:13], v[44:45], 2, s[36:37]
	v_lshl_add_u64 v[10:11], v[10:11], 2, s[36:37]
	s_or_b64 s[8:9], vcc, s[8:9]
	global_store_dword v[12:13], v4, off
	global_store_dword v[10:11], v4, off
	s_andn2_b64 exec, exec, s[8:9]
	s_cbranch_execnz .LBB2_96
; %bb.97:                               ;   in Loop: Header=BB2_39 Depth=1
	s_or_b64 exec, exec, s[8:9]
	v_cmp_ne_u32_e32 vcc, v6, v7
	v_lshl_add_u32 v0, v7, 7, v0
	s_orn2_b64 s[8:9], vcc, exec
.LBB2_98:                               ;   in Loop: Header=BB2_39 Depth=1
	s_or_b64 exec, exec, s[6:7]
	s_andn2_b64 s[2:3], s[2:3], exec
	s_and_b64 s[6:7], s[8:9], exec
	s_or_b64 s[2:3], s[2:3], s[6:7]
.LBB2_99:                               ;   in Loop: Header=BB2_39 Depth=1
	s_or_b64 exec, exec, s[4:5]
	s_and_b64 exec, exec, s[2:3]
	s_cbranch_execz .LBB2_102
; %bb.100:                              ;   in Loop: Header=BB2_39 Depth=1
	s_mov_b64 s[2:3], 0
	s_waitcnt vmcnt(0)
.LBB2_101:                              ;   Parent Loop BB2_39 Depth=1
                                        ; =>  This Inner Loop Header: Depth=2
	v_add_u32_e32 v44, s34, v0
	v_add_u32_e32 v0, 0x80, v0
	v_cmp_ge_u32_e32 vcc, v0, v5
	v_lshl_add_u64 v[2:3], v[44:45], 2, s[36:37]
	s_or_b64 s[2:3], vcc, s[2:3]
	global_store_dword v[2:3], v4, off
	s_andn2_b64 exec, exec, s[2:3]
	s_cbranch_execnz .LBB2_101
.LBB2_102:                              ;   in Loop: Header=BB2_39 Depth=1
	s_or_b64 exec, exec, s[0:1]
	s_barrier
	ds_read_b32 v2, v45 offset:15976
	s_mov_b64 s[0:1], -1
	s_waitcnt lgkmcnt(0)
	v_cmp_lt_u32_e32 vcc, s42, v2
	s_cbranch_vccz .LBB2_106
; %bb.103:                              ;   in Loop: Header=BB2_39 Depth=1
	s_and_saveexec_b64 s[0:1], s[14:15]
	s_cbranch_execz .LBB2_105
; %bb.104:                              ;   in Loop: Header=BB2_39 Depth=1
	ds_read_b32 v0, v45 offset:15364
	v_add_u32_e32 v1, v2, v42
	v_xor_b32_e32 v3, 1, v70
	s_waitcnt vmcnt(0) lgkmcnt(0)
	v_add_u32_e32 v4, 1, v0
	v_mul_lo_u32 v0, v0, 12
	ds_write_b32 v45, v4 offset:15364
	v_add_u32_e32 v4, 0x3e2c, v0
	ds_write2_b32 v4, v42, v1 offset1:1
	ds_write_b32 v0, v3 offset:15924
.LBB2_105:                              ;   in Loop: Header=BB2_39 Depth=1
	s_or_b64 exec, exec, s[0:1]
	s_mov_b64 s[0:1], 0
	s_waitcnt lgkmcnt(0)
	s_barrier
.LBB2_106:                              ;   in Loop: Header=BB2_39 Depth=1
	s_and_b64 vcc, exec, s[0:1]
	s_cbranch_vccz .LBB2_108
; %bb.107:                              ;   in Loop: Header=BB2_39 Depth=1
	ds_read_b64 v[0:1], v45 offset:15896
	s_add_u32 s8, s12, 24
	s_addc_u32 s9, s13, 0
	v_add_u32_e32 v5, v2, v42
	s_getpc_b64 s[0:1]
	s_add_u32 s0, s0, _Z14sort_thresholdIjEvPT_S1_jjS1_j@rel32@lo+4
	s_addc_u32 s1, s1, _Z14sort_thresholdIjEvPT_S1_jjS1_j@rel32@hi+12
	v_mov_b32_e32 v2, s33
	v_mov_b32_e32 v3, s35
	s_waitcnt vmcnt(0)
	v_mov_b32_e32 v4, v42
	v_mov_b32_e32 v6, v40
	s_swappc_b64 s[30:31], s[0:1]
.LBB2_108:                              ;   in Loop: Header=BB2_39 Depth=1
	ds_read_b32 v2, v45 offset:15892
	s_mov_b64 s[0:1], -1
	s_waitcnt lgkmcnt(0)
	v_cmp_lt_u32_e32 vcc, s42, v2
	s_cbranch_vccnz .LBB2_110
; %bb.109:                              ;   in Loop: Header=BB2_39 Depth=1
	s_and_b64 vcc, exec, s[0:1]
	s_cbranch_vccz .LBB2_38
	s_branch .LBB2_113
.LBB2_110:                              ;   in Loop: Header=BB2_39 Depth=1
	s_and_saveexec_b64 s[0:1], s[14:15]
	s_cbranch_execz .LBB2_112
; %bb.111:                              ;   in Loop: Header=BB2_39 Depth=1
	ds_read_b32 v0, v45 offset:15364
	v_sub_u32_e32 v1, v43, v2
	v_xor_b32_e32 v3, 1, v70
	s_waitcnt vmcnt(0) lgkmcnt(0)
	v_add_u32_e32 v4, 1, v0
	v_mul_lo_u32 v0, v0, 12
	ds_write_b32 v45, v4 offset:15364
	v_add_u32_e32 v4, 0x3e2c, v0
	ds_write2_b32 v4, v1, v43 offset1:1
	ds_write_b32 v0, v3 offset:15924
.LBB2_112:                              ;   in Loop: Header=BB2_39 Depth=1
	s_or_b64 exec, exec, s[0:1]
	s_waitcnt lgkmcnt(0)
	s_barrier
	s_branch .LBB2_38
.LBB2_113:                              ;   in Loop: Header=BB2_39 Depth=1
	ds_read_b64 v[0:1], v45 offset:15896
	s_add_u32 s8, s12, 24
	s_addc_u32 s9, s13, 0
	s_waitcnt vmcnt(0)
	v_sub_u32_e32 v4, v43, v2
	s_getpc_b64 s[0:1]
	s_add_u32 s0, s0, _Z14sort_thresholdIjEvPT_S1_jjS1_j@rel32@lo+4
	s_addc_u32 s1, s1, _Z14sort_thresholdIjEvPT_S1_jjS1_j@rel32@hi+12
	v_mov_b32_e32 v2, s33
	v_mov_b32_e32 v3, s35
	;; [unrolled: 1-line block ×4, first 2 shown]
	s_swappc_b64 s[30:31], s[0:1]
	s_branch .LBB2_38
.LBB2_114:
	s_endpgm
	.section	.rodata,"a",@progbits
	.p2align	6, 0x0
	.amdhsa_kernel _Z13lqsort_kernelIjEvPT_S1_P11work_recordIS0_E
		.amdhsa_group_segment_fixed_size 15984
		.amdhsa_private_segment_fixed_size 0
		.amdhsa_kernarg_size 280
		.amdhsa_user_sgpr_count 2
		.amdhsa_user_sgpr_dispatch_ptr 0
		.amdhsa_user_sgpr_queue_ptr 0
		.amdhsa_user_sgpr_kernarg_segment_ptr 1
		.amdhsa_user_sgpr_dispatch_id 0
		.amdhsa_user_sgpr_kernarg_preload_length 0
		.amdhsa_user_sgpr_kernarg_preload_offset 0
		.amdhsa_user_sgpr_private_segment_size 0
		.amdhsa_uses_dynamic_stack 0
		.amdhsa_enable_private_segment 0
		.amdhsa_system_sgpr_workgroup_id_x 1
		.amdhsa_system_sgpr_workgroup_id_y 0
		.amdhsa_system_sgpr_workgroup_id_z 0
		.amdhsa_system_sgpr_workgroup_info 0
		.amdhsa_system_vgpr_workitem_id 0
		.amdhsa_next_free_vgpr 71
		.amdhsa_next_free_sgpr 45
		.amdhsa_accum_offset 72
		.amdhsa_reserve_vcc 1
		.amdhsa_float_round_mode_32 0
		.amdhsa_float_round_mode_16_64 0
		.amdhsa_float_denorm_mode_32 3
		.amdhsa_float_denorm_mode_16_64 3
		.amdhsa_dx10_clamp 1
		.amdhsa_ieee_mode 1
		.amdhsa_fp16_overflow 0
		.amdhsa_tg_split 0
		.amdhsa_exception_fp_ieee_invalid_op 0
		.amdhsa_exception_fp_denorm_src 0
		.amdhsa_exception_fp_ieee_div_zero 0
		.amdhsa_exception_fp_ieee_overflow 0
		.amdhsa_exception_fp_ieee_underflow 0
		.amdhsa_exception_fp_ieee_inexact 0
		.amdhsa_exception_int_div_zero 0
	.end_amdhsa_kernel
	.section	.text._Z13lqsort_kernelIjEvPT_S1_P11work_recordIS0_E,"axG",@progbits,_Z13lqsort_kernelIjEvPT_S1_P11work_recordIS0_E,comdat
.Lfunc_end2:
	.size	_Z13lqsort_kernelIjEvPT_S1_P11work_recordIS0_E, .Lfunc_end2-_Z13lqsort_kernelIjEvPT_S1_P11work_recordIS0_E
                                        ; -- End function
	.set _Z13lqsort_kernelIjEvPT_S1_P11work_recordIS0_E.num_vgpr, max(71, .L_Z14sort_thresholdIjEvPT_S1_jjS1_j.num_vgpr)
	.set _Z13lqsort_kernelIjEvPT_S1_P11work_recordIS0_E.num_agpr, max(0, .L_Z14sort_thresholdIjEvPT_S1_jjS1_j.num_agpr)
	.set _Z13lqsort_kernelIjEvPT_S1_P11work_recordIS0_E.numbered_sgpr, max(45, .L_Z14sort_thresholdIjEvPT_S1_jjS1_j.numbered_sgpr)
	.set _Z13lqsort_kernelIjEvPT_S1_P11work_recordIS0_E.num_named_barrier, max(0, .L_Z14sort_thresholdIjEvPT_S1_jjS1_j.num_named_barrier)
	.set _Z13lqsort_kernelIjEvPT_S1_P11work_recordIS0_E.private_seg_size, 0+max(.L_Z14sort_thresholdIjEvPT_S1_jjS1_j.private_seg_size)
	.set _Z13lqsort_kernelIjEvPT_S1_P11work_recordIS0_E.uses_vcc, or(1, .L_Z14sort_thresholdIjEvPT_S1_jjS1_j.uses_vcc)
	.set _Z13lqsort_kernelIjEvPT_S1_P11work_recordIS0_E.uses_flat_scratch, or(0, .L_Z14sort_thresholdIjEvPT_S1_jjS1_j.uses_flat_scratch)
	.set _Z13lqsort_kernelIjEvPT_S1_P11work_recordIS0_E.has_dyn_sized_stack, or(0, .L_Z14sort_thresholdIjEvPT_S1_jjS1_j.has_dyn_sized_stack)
	.set _Z13lqsort_kernelIjEvPT_S1_P11work_recordIS0_E.has_recursion, or(0, .L_Z14sort_thresholdIjEvPT_S1_jjS1_j.has_recursion)
	.set _Z13lqsort_kernelIjEvPT_S1_P11work_recordIS0_E.has_indirect_call, or(0, .L_Z14sort_thresholdIjEvPT_S1_jjS1_j.has_indirect_call)
	.section	.AMDGPU.csdata,"",@progbits
; Kernel info:
; codeLenInByte = 5580
; TotalNumSgprs: 51
; NumVgprs: 71
; NumAgprs: 0
; TotalNumVgprs: 71
; ScratchSize: 0
; MemoryBound: 0
; FloatMode: 240
; IeeeMode: 1
; LDSByteSize: 15984 bytes/workgroup (compile time only)
; SGPRBlocks: 6
; VGPRBlocks: 8
; NumSGPRsForWavesPerEU: 51
; NumVGPRsForWavesPerEU: 71
; AccumOffset: 72
; Occupancy: 7
; WaveLimiterHint : 1
; COMPUTE_PGM_RSRC2:SCRATCH_EN: 0
; COMPUTE_PGM_RSRC2:USER_SGPR: 2
; COMPUTE_PGM_RSRC2:TRAP_HANDLER: 0
; COMPUTE_PGM_RSRC2:TGID_X_EN: 1
; COMPUTE_PGM_RSRC2:TGID_Y_EN: 0
; COMPUTE_PGM_RSRC2:TGID_Z_EN: 0
; COMPUTE_PGM_RSRC2:TIDIG_COMP_CNT: 0
; COMPUTE_PGM_RSRC3_GFX90A:ACCUM_OFFSET: 17
; COMPUTE_PGM_RSRC3_GFX90A:TG_SPLIT: 0
	.section	.text._Z13gqsort_kernelIfEvPT_S1_P12block_recordIS0_EP13parent_recordP11work_recordIS0_E,"axG",@progbits,_Z13gqsort_kernelIfEvPT_S1_P12block_recordIS0_EP13parent_recordP11work_recordIS0_E,comdat
	.protected	_Z13gqsort_kernelIfEvPT_S1_P12block_recordIS0_EP13parent_recordP11work_recordIS0_E ; -- Begin function _Z13gqsort_kernelIfEvPT_S1_P12block_recordIS0_EP13parent_recordP11work_recordIS0_E
	.globl	_Z13gqsort_kernelIfEvPT_S1_P12block_recordIS0_EP13parent_recordP11work_recordIS0_E
	.p2align	8
	.type	_Z13gqsort_kernelIfEvPT_S1_P12block_recordIS0_EP13parent_recordP11work_recordIS0_E,@function
_Z13gqsort_kernelIfEvPT_S1_P12block_recordIS0_EP13parent_recordP11work_recordIS0_E: ; @_Z13gqsort_kernelIfEvPT_S1_P12block_recordIS0_EP13parent_recordP11work_recordIS0_E
; %bb.0:
	s_load_dwordx8 s[20:27], s[0:1], 0x0
	s_mul_i32 s4, s2, 20
	s_mul_hi_u32 s3, s2, 20
	v_lshlrev_b32_e32 v1, 2, v0
	v_mov_b32_e32 v3, 0
	s_waitcnt lgkmcnt(0)
	s_add_u32 s4, s24, s4
	s_addc_u32 s5, s25, s3
	s_load_dwordx4 s[28:31], s[4:5], 0x0
	s_load_dword s3, s[4:5], 0x10
	v_add_u32_e32 v8, 0x210, v1
	v_mov_b32_e32 v6, 0
	ds_write2_b32 v1, v3, v3 offset1:132
	s_waitcnt lgkmcnt(0)
	s_cmp_eq_u32 s31, 1
	s_cselect_b64 s[24:25], -1, 0
	s_and_b64 s[4:5], s[24:25], exec
	v_add_u32_e32 v2, s28, v0
	s_cselect_b32 s19, s21, s23
	s_cselect_b32 s18, s20, s22
	v_cmp_gt_u32_e32 vcc, s29, v2
	s_barrier
	s_and_saveexec_b64 s[6:7], vcc
	s_cbranch_execz .LBB3_12
; %bb.1:
	v_add_u32_e32 v3, 0x80, v2
	v_max_u32_e32 v7, s29, v3
	v_xad_u32 v3, v0, -1, v7
	v_subrev_u32_e32 v5, s28, v3
	s_movk_i32 s4, 0x780
	v_cmp_gt_u32_e64 s[8:9], s4, v5
	s_movk_i32 s4, 0x77f
	v_cmp_lt_u32_e64 s[4:5], s4, v5
	v_mov_b32_e32 v3, 0
	v_mov_b32_e32 v6, 0
	;; [unrolled: 1-line block ×3, first 2 shown]
	s_and_saveexec_b64 s[10:11], s[4:5]
	s_cbranch_execz .LBB3_7
; %bb.2:
	v_sub_u32_e32 v3, v0, v7
	v_add_u32_e32 v3, s28, v3
	v_or_b32_e32 v3, 0x7f, v3
	v_cmp_ge_u32_e64 s[4:5], v3, v2
	s_mov_b64 s[14:15], -1
	v_mov_b32_e32 v3, 0
	v_mov_b32_e32 v6, 0
	;; [unrolled: 1-line block ×3, first 2 shown]
	s_and_saveexec_b64 s[12:13], s[4:5]
	s_cbranch_execz .LBB3_6
; %bb.3:
	v_lshrrev_b32_e32 v3, 7, v5
	v_add_u32_e32 v9, 1, v3
	v_and_b32_e32 v10, 0x3fffffe, v9
	v_add_u32_e32 v3, 0x80, v2
	s_mov_b32 s16, s30
	s_mov_b32 s17, s30
	v_mov_b32_e32 v5, 0
	s_mov_b64 s[14:15], 0
	v_mov_b32_e32 v13, v10
	v_mov_b64_e32 v[6:7], v[2:3]
	v_mov_b32_e32 v3, 0
	v_mov_b32_e32 v11, 0
	;; [unrolled: 1-line block ×4, first 2 shown]
.LBB3_4:                                ; =>This Inner Loop Header: Depth=1
	v_mov_b32_e32 v4, v6
	v_lshl_add_u64 v[16:17], v[4:5], 2, s[18:19]
	global_load_dword v15, v[16:17], off
	v_mov_b32_e32 v4, v7
	v_lshl_add_u64 v[16:17], v[4:5], 2, s[18:19]
	global_load_dword v4, v[16:17], off
	v_add_u32_e32 v13, -2, v13
	v_cmp_eq_u32_e64 s[4:5], 0, v13
	s_or_b64 s[14:15], s[4:5], s[14:15]
	v_add_u32_e32 v6, 0x100, v6
	v_add_u32_e32 v7, 0x100, v7
	s_waitcnt vmcnt(1)
	v_cvt_u32_f32_e32 v15, v15
	s_waitcnt vmcnt(0)
	v_cvt_u32_f32_e32 v4, v4
	v_cvt_f32_u32_e32 v15, v15
	v_cvt_f32_u32_e32 v4, v4
	v_cmp_gt_f32_e64 s[4:5], s16, v15
	s_nop 1
	v_addc_co_u32_e64 v3, s[4:5], 0, v3, s[4:5]
	v_cmp_lt_f32_e64 s[4:5], s16, v15
	s_nop 1
	v_addc_co_u32_e64 v12, s[4:5], 0, v12, s[4:5]
	v_cmp_gt_f32_e64 s[4:5], s17, v4
	s_nop 1
	v_addc_co_u32_e64 v11, s[4:5], 0, v11, s[4:5]
	v_cmp_lt_f32_e64 s[4:5], s17, v4
	s_nop 1
	v_addc_co_u32_e64 v14, s[4:5], 0, v14, s[4:5]
	s_andn2_b64 exec, exec, s[14:15]
	s_cbranch_execnz .LBB3_4
; %bb.5:
	s_or_b64 exec, exec, s[14:15]
	v_cmp_ne_u32_e64 s[4:5], v9, v10
	v_lshl_add_u32 v4, v10, 7, v2
	v_add_u32_e32 v6, v3, v11
	v_add_u32_e32 v3, v12, v14
	s_orn2_b64 s[14:15], s[4:5], exec
.LBB3_6:
	s_or_b64 exec, exec, s[12:13]
	s_andn2_b64 s[4:5], s[8:9], exec
	s_and_b64 s[8:9], s[14:15], exec
	s_or_b64 s[8:9], s[4:5], s[8:9]
.LBB3_7:
	s_or_b64 exec, exec, s[10:11]
	s_and_saveexec_b64 s[10:11], s[8:9]
	s_cbranch_execz .LBB3_11
; %bb.8:
	s_mov_b64 s[8:9], 0
	v_mov_b32_e32 v5, 0
.LBB3_9:                                ; =>This Inner Loop Header: Depth=1
	v_lshl_add_u64 v[10:11], v[4:5], 2, s[18:19]
	global_load_dword v7, v[10:11], off
	v_add_u32_e32 v4, 0x80, v4
	v_cmp_le_u32_e64 s[4:5], s29, v4
	s_or_b64 s[8:9], s[4:5], s[8:9]
	s_waitcnt vmcnt(0)
	v_cvt_u32_f32_e32 v7, v7
	v_cvt_f32_u32_e32 v7, v7
	v_cmp_gt_f32_e64 s[4:5], s30, v7
	s_nop 1
	v_addc_co_u32_e64 v6, s[4:5], 0, v6, s[4:5]
	v_cmp_lt_f32_e64 s[4:5], s30, v7
	s_nop 1
	v_addc_co_u32_e64 v3, s[4:5], 0, v3, s[4:5]
	s_andn2_b64 exec, exec, s[8:9]
	s_cbranch_execnz .LBB3_9
; %bb.10:
	s_or_b64 exec, exec, s[8:9]
.LBB3_11:
	s_or_b64 exec, exec, s[10:11]
.LBB3_12:
	s_or_b64 exec, exec, s[6:7]
	ds_write_b32 v8, v6
	ds_write_b32 v1, v3
	v_and_b32_e32 v3, 1, v0
	v_cmp_eq_u32_e64 s[16:17], 1, v3
	v_add_u32_e32 v3, -4, v8
	v_add_u32_e32 v4, -4, v1
	s_waitcnt lgkmcnt(0)
	s_barrier
	s_and_saveexec_b64 s[4:5], s[16:17]
	s_cbranch_execz .LBB3_14
; %bb.13:
	ds_read2_b32 v[6:7], v3 offset1:1
	ds_read2_b32 v[10:11], v4 offset1:1
	s_waitcnt lgkmcnt(1)
	v_add_u32_e32 v5, v7, v6
	s_waitcnt lgkmcnt(0)
	v_add_u32_e32 v6, v11, v10
	ds_write_b32 v8, v5
	ds_write_b32 v1, v6
.LBB3_14:
	s_or_b64 exec, exec, s[4:5]
	v_and_b32_e32 v5, 3, v0
	v_cmp_eq_u32_e64 s[4:5], 3, v5
	v_add_u32_e32 v6, -8, v8
	v_add_u32_e32 v5, -8, v1
	s_waitcnt lgkmcnt(0)
	s_barrier
	s_and_saveexec_b64 s[6:7], s[4:5]
	s_cbranch_execz .LBB3_16
; %bb.15:
	ds_read_b32 v7, v6
	ds_read_b32 v9, v5
	;; [unrolled: 1-line block ×4, first 2 shown]
	s_waitcnt lgkmcnt(1)
	v_add_u32_e32 v7, v10, v7
	s_waitcnt lgkmcnt(0)
	v_add_u32_e32 v9, v11, v9
	ds_write_b32 v8, v7
	ds_write_b32 v1, v9
.LBB3_16:
	s_or_b64 exec, exec, s[6:7]
	v_and_b32_e32 v7, 7, v0
	v_cmp_eq_u32_e64 s[6:7], 7, v7
	v_add_u32_e32 v9, -16, v8
	v_add_u32_e32 v7, -16, v1
	s_waitcnt lgkmcnt(0)
	s_barrier
	s_and_saveexec_b64 s[8:9], s[6:7]
	s_cbranch_execz .LBB3_18
; %bb.17:
	ds_read_b32 v10, v9
	ds_read_b32 v11, v7
	;; [unrolled: 1-line block ×4, first 2 shown]
	s_waitcnt lgkmcnt(1)
	v_add_u32_e32 v10, v12, v10
	s_waitcnt lgkmcnt(0)
	v_add_u32_e32 v11, v13, v11
	ds_write_b32 v8, v10
	ds_write_b32 v1, v11
.LBB3_18:
	s_or_b64 exec, exec, s[8:9]
	v_and_b32_e32 v10, 15, v0
	v_cmp_eq_u32_e64 s[8:9], 15, v10
	v_subrev_u32_e32 v11, 32, v8
	v_subrev_u32_e32 v10, 32, v1
	s_waitcnt lgkmcnt(0)
	s_barrier
	s_and_saveexec_b64 s[10:11], s[8:9]
	s_cbranch_execz .LBB3_20
; %bb.19:
	ds_read_b32 v12, v11
	ds_read_b32 v13, v10
	;; [unrolled: 1-line block ×4, first 2 shown]
	s_waitcnt lgkmcnt(1)
	v_add_u32_e32 v12, v14, v12
	s_waitcnt lgkmcnt(0)
	v_add_u32_e32 v13, v15, v13
	ds_write_b32 v8, v12
	ds_write_b32 v1, v13
.LBB3_20:
	s_or_b64 exec, exec, s[10:11]
	v_and_b32_e32 v12, 31, v0
	v_cmp_eq_u32_e64 s[10:11], 31, v12
	v_subrev_u32_e32 v13, 64, v8
	v_subrev_u32_e32 v12, 64, v1
	s_waitcnt lgkmcnt(0)
	s_barrier
	s_and_saveexec_b64 s[12:13], s[10:11]
	s_cbranch_execz .LBB3_22
; %bb.21:
	ds_read_b32 v14, v13
	ds_read_b32 v15, v12
	ds_read_b32 v16, v8
	ds_read_b32 v17, v1
	s_waitcnt lgkmcnt(1)
	v_add_u32_e32 v14, v16, v14
	s_waitcnt lgkmcnt(0)
	v_add_u32_e32 v15, v17, v15
	ds_write_b32 v8, v14
	ds_write_b32 v1, v15
.LBB3_22:
	s_or_b64 exec, exec, s[12:13]
	v_and_b32_e32 v14, 63, v0
	v_cmp_eq_u32_e64 s[12:13], 63, v14
	s_waitcnt lgkmcnt(0)
	s_barrier
	s_and_saveexec_b64 s[14:15], s[12:13]
	s_cbranch_execz .LBB3_24
; %bb.23:
	v_add_u32_e32 v14, 0xffffff80, v8
	v_add_u32_e32 v15, 0xffffff80, v1
	ds_read_b32 v14, v14
	ds_read_b32 v15, v15
	;; [unrolled: 1-line block ×4, first 2 shown]
	s_waitcnt lgkmcnt(1)
	v_add_u32_e32 v14, v16, v14
	ds_write_b32 v8, v14
	s_waitcnt lgkmcnt(1)
	v_add_u32_e32 v14, v17, v15
	ds_write_b32 v1, v14
.LBB3_24:
	s_or_b64 exec, exec, s[14:15]
	s_movk_i32 s14, 0x7f
	v_and_b32_e32 v14, 0x7f, v0
	v_cmp_eq_u32_e64 s[14:15], s14, v14
	s_waitcnt lgkmcnt(0)
	s_barrier
	s_and_saveexec_b64 s[34:35], s[14:15]
	s_cbranch_execz .LBB3_26
; %bb.25:
	v_add_u32_e32 v14, 0xffffff00, v8
	v_add_u32_e32 v15, 0xffffff00, v1
	ds_read_b32 v14, v14
	ds_read_b32 v15, v15
	;; [unrolled: 1-line block ×4, first 2 shown]
	s_waitcnt lgkmcnt(1)
	v_add_u32_e32 v14, v16, v14
	ds_write_b32 v8, v14
	s_waitcnt lgkmcnt(1)
	v_add_u32_e32 v14, v17, v15
	ds_write_b32 v1, v14
.LBB3_26:
	s_or_b64 exec, exec, s[34:35]
	s_waitcnt lgkmcnt(0)
	s_barrier
	s_and_saveexec_b64 s[34:35], s[14:15]
	s_cbranch_execz .LBB3_28
; %bb.27:
	ds_read_b32 v14, v8
	ds_read_b32 v16, v1
	v_mov_b32_e32 v17, 0
	s_waitcnt lgkmcnt(1)
	v_mov_b32_e32 v15, v14
	s_waitcnt lgkmcnt(0)
	ds_write2_b32 v17, v16, v16 offset0:128 offset1:131
	ds_write_b64 v17, v[14:15] offset:1040
	ds_write_b32 v8, v17
	ds_write_b32 v1, v17
.LBB3_28:
	s_or_b64 exec, exec, s[34:35]
	s_and_saveexec_b64 s[34:35], s[14:15]
	s_cbranch_execz .LBB3_30
; %bb.29:
	v_add_u32_e32 v15, 0xffffff00, v1
	v_add_u32_e32 v14, 0xffffff00, v8
	ds_read_b32 v16, v15
	ds_read_b32 v17, v8
	;; [unrolled: 1-line block ×4, first 2 shown]
	s_waitcnt lgkmcnt(2)
	ds_write_b32 v14, v17
	s_waitcnt lgkmcnt(2)
	v_add_u32_e32 v14, v17, v18
	ds_write_b32 v8, v14
	s_waitcnt lgkmcnt(2)
	ds_write_b32 v15, v19
	v_add_u32_e32 v14, v19, v16
	ds_write_b32 v1, v14
.LBB3_30:
	s_or_b64 exec, exec, s[34:35]
	s_waitcnt lgkmcnt(0)
	s_barrier
	s_and_saveexec_b64 s[14:15], s[12:13]
	s_cbranch_execz .LBB3_32
; %bb.31:
	v_add_u32_e32 v15, 0xffffff80, v1
	v_add_u32_e32 v14, 0xffffff80, v8
	ds_read_b32 v16, v15
	ds_read_b32 v17, v8
	;; [unrolled: 1-line block ×4, first 2 shown]
	s_waitcnt lgkmcnt(2)
	ds_write_b32 v14, v17
	s_waitcnt lgkmcnt(2)
	v_add_u32_e32 v14, v17, v18
	ds_write_b32 v8, v14
	s_waitcnt lgkmcnt(2)
	ds_write_b32 v15, v19
	v_add_u32_e32 v14, v19, v16
	ds_write_b32 v1, v14
.LBB3_32:
	s_or_b64 exec, exec, s[14:15]
	s_waitcnt lgkmcnt(0)
	s_barrier
	s_and_saveexec_b64 s[12:13], s[10:11]
	s_cbranch_execz .LBB3_34
; %bb.33:
	ds_read_b32 v14, v12
	ds_read_b32 v15, v8
	ds_read_b32 v16, v13
	ds_read_b32 v17, v1
	s_waitcnt lgkmcnt(2)
	ds_write_b32 v13, v15
	s_waitcnt lgkmcnt(2)
	v_add_u32_e32 v13, v15, v16
	ds_write_b32 v8, v13
	s_waitcnt lgkmcnt(2)
	ds_write_b32 v12, v17
	v_add_u32_e32 v12, v17, v14
	ds_write_b32 v1, v12
.LBB3_34:
	s_or_b64 exec, exec, s[12:13]
	s_waitcnt lgkmcnt(0)
	s_barrier
	s_and_saveexec_b64 s[10:11], s[8:9]
	s_cbranch_execz .LBB3_36
; %bb.35:
	ds_read_b32 v12, v10
	ds_read_b32 v13, v8
	ds_read_b32 v14, v11
	ds_read_b32 v15, v1
	s_waitcnt lgkmcnt(2)
	ds_write_b32 v11, v13
	s_waitcnt lgkmcnt(2)
	v_add_u32_e32 v11, v13, v14
	ds_write_b32 v8, v11
	s_waitcnt lgkmcnt(2)
	ds_write_b32 v10, v15
	v_add_u32_e32 v10, v15, v12
	ds_write_b32 v1, v10
.LBB3_36:
	s_or_b64 exec, exec, s[10:11]
	s_waitcnt lgkmcnt(0)
	s_barrier
	s_and_saveexec_b64 s[8:9], s[6:7]
	s_cbranch_execz .LBB3_38
; %bb.37:
	ds_read_b32 v10, v7
	ds_read_b32 v11, v8
	ds_read_b32 v12, v9
	ds_read_b32 v13, v1
	s_waitcnt lgkmcnt(2)
	ds_write_b32 v9, v11
	s_waitcnt lgkmcnt(2)
	v_add_u32_e32 v9, v11, v12
	ds_write_b32 v8, v9
	s_waitcnt lgkmcnt(2)
	ds_write_b32 v7, v13
	v_add_u32_e32 v7, v13, v10
	ds_write_b32 v1, v7
.LBB3_38:
	s_or_b64 exec, exec, s[8:9]
	s_load_dwordx2 s[6:7], s[0:1], 0x20
	s_waitcnt lgkmcnt(0)
	s_barrier
	s_and_saveexec_b64 s[0:1], s[4:5]
	s_cbranch_execz .LBB3_40
; %bb.39:
	ds_read_b32 v7, v5
	ds_read_b32 v9, v8
	;; [unrolled: 1-line block ×4, first 2 shown]
	s_waitcnt lgkmcnt(2)
	ds_write_b32 v6, v9
	s_waitcnt lgkmcnt(2)
	v_add_u32_e32 v6, v9, v10
	ds_write_b32 v8, v6
	s_waitcnt lgkmcnt(2)
	ds_write_b32 v5, v11
	v_add_u32_e32 v5, v11, v7
	ds_write_b32 v1, v5
.LBB3_40:
	s_or_b64 exec, exec, s[0:1]
	s_waitcnt lgkmcnt(0)
	s_barrier
	s_and_saveexec_b64 s[0:1], s[16:17]
	s_cbranch_execz .LBB3_42
; %bb.41:
	ds_read2_b32 v[6:7], v3 offset1:1
	ds_read2_b32 v[10:11], v4 offset1:1
	s_waitcnt lgkmcnt(1)
	v_add_u32_e32 v5, v7, v6
	s_waitcnt lgkmcnt(0)
	v_add_u32_e32 v6, v11, v10
	ds_write2_b32 v3, v7, v5 offset1:1
	ds_write2_b32 v4, v11, v6 offset1:1
.LBB3_42:
	s_or_b64 exec, exec, s[0:1]
	v_cmp_eq_u32_e64 s[0:1], 0, v0
	s_waitcnt lgkmcnt(0)
	s_barrier
                                        ; implicit-def: $sgpr16_sgpr17
                                        ; implicit-def: $sgpr14_sgpr15
                                        ; implicit-def: $sgpr12_sgpr13
                                        ; implicit-def: $sgpr10_sgpr11
                                        ; implicit-def: $sgpr8_sgpr9
	s_and_saveexec_b64 s[34:35], s[0:1]
	s_cbranch_execz .LBB3_48
; %bb.43:
	v_mov_b32_e32 v3, 0
	ds_read_b32 v4, v3 offset:1044
	s_mov_b64 s[10:11], exec
	s_mul_hi_u32 s4, s3, 20
	s_mul_i32 s3, s3, 20
	v_mbcnt_lo_u32_b32 v0, s10, 0
	s_add_u32 s8, s26, s3
	v_mbcnt_hi_u32_b32 v5, s11, v0
	s_addc_u32 s9, s27, s4
	v_cmp_eq_u32_e64 s[4:5], 0, v5
                                        ; implicit-def: $vgpr6
	s_and_saveexec_b64 s[12:13], s[4:5]
	s_cbranch_execz .LBB3_45
; %bb.44:
	s_bcnt1_i32_b64 s3, s[10:11]
	s_waitcnt lgkmcnt(0)
	v_mul_lo_u32 v0, v4, s3
	global_atomic_add v6, v3, v0, s[8:9] sc0
.LBB3_45:
	s_or_b64 exec, exec, s[12:13]
	ds_read_b32 v0, v3 offset:524
	s_waitcnt vmcnt(0)
	v_readfirstlane_b32 s3, v6
	s_waitcnt lgkmcnt(1)
	v_mul_lo_u32 v4, v4, v5
	s_mov_b64 s[12:13], exec
	v_add_u32_e32 v4, s3, v4
	ds_write_b32 v3, v4 offset:520
	v_mbcnt_lo_u32_b32 v4, s12, 0
	s_add_u32 s10, s8, 4
	v_mbcnt_hi_u32_b32 v4, s13, v4
	s_addc_u32 s11, s9, 0
	s_waitcnt lgkmcnt(1)
	v_sub_u32_e32 v3, 0, v0
	v_cmp_eq_u32_e64 s[4:5], 0, v4
                                        ; implicit-def: $vgpr5
	s_and_saveexec_b64 s[14:15], s[4:5]
	s_cbranch_execz .LBB3_47
; %bb.46:
	s_bcnt1_i32_b64 s3, s[12:13]
	v_mul_lo_u32 v5, v3, s3
	v_mov_b32_e32 v6, 0
	global_atomic_add v5, v6, v5, s[10:11] sc0
.LBB3_47:
	s_or_b64 exec, exec, s[14:15]
	s_add_u32 s12, s8, 8
	s_addc_u32 s13, s9, 0
	s_add_u32 s14, s8, 12
	s_addc_u32 s15, s9, 0
	s_waitcnt vmcnt(0)
	v_readfirstlane_b32 s3, v5
	v_mul_lo_u32 v3, v3, v4
	s_add_u32 s16, s8, 16
	v_add_u32_e32 v3, s3, v3
	s_addc_u32 s17, s9, 0
	v_sub_u32_e32 v0, v3, v0
	v_mov_b32_e32 v3, 0
	ds_write_b32 v3, v0 offset:516
.LBB3_48:
	s_or_b64 exec, exec, s[34:35]
	s_and_b64 s[4:5], s[24:25], exec
	s_cselect_b32 s5, s23, s21
	s_cselect_b32 s4, s22, s20
	s_waitcnt lgkmcnt(0)
	s_barrier
	s_and_saveexec_b64 s[22:23], vcc
	s_cbranch_execz .LBB3_55
; %bb.49:
	v_mov_b32_e32 v3, 0
	ds_read_b32 v4, v1
	ds_read2_b32 v[0:1], v3 offset0:129 offset1:130
	ds_read_b32 v5, v8
	s_mov_b64 s[24:25], 0
	s_waitcnt lgkmcnt(1)
	v_add_u32_e32 v0, v4, v0
	s_waitcnt lgkmcnt(0)
	v_add_u32_e32 v4, v5, v1
	s_branch .LBB3_51
.LBB3_50:                               ;   in Loop: Header=BB3_51 Depth=1
	s_or_b64 exec, exec, s[26:27]
	v_add_u32_e32 v2, 0x80, v2
	v_cmp_le_u32_e32 vcc, s29, v2
	s_or_b64 s[24:25], vcc, s[24:25]
	s_andn2_b64 exec, exec, s[24:25]
	s_cbranch_execz .LBB3_55
.LBB3_51:                               ; =>This Inner Loop Header: Depth=1
	v_lshl_add_u64 v[6:7], v[2:3], 2, s[18:19]
	global_load_dword v1, v[6:7], off
	s_waitcnt vmcnt(0)
	v_cvt_u32_f32_e32 v1, v1
	v_cvt_f32_u32_e32 v6, v1
	v_cmp_gt_f32_e32 vcc, s30, v6
	s_and_saveexec_b64 s[26:27], vcc
	s_cbranch_execz .LBB3_53
; %bb.52:                               ;   in Loop: Header=BB3_51 Depth=1
	v_mov_b32_e32 v5, v3
	v_lshl_add_u64 v[8:9], v[4:5], 2, s[4:5]
	v_add_u32_e32 v4, 1, v4
	global_store_dword v[8:9], v6, off
.LBB3_53:                               ;   in Loop: Header=BB3_51 Depth=1
	s_or_b64 exec, exec, s[26:27]
	v_cmp_lt_f32_e32 vcc, s30, v6
	s_and_saveexec_b64 s[26:27], vcc
	s_cbranch_execz .LBB3_50
; %bb.54:                               ;   in Loop: Header=BB3_51 Depth=1
	v_mov_b32_e32 v1, v3
	v_lshl_add_u64 v[8:9], v[0:1], 2, s[4:5]
	v_add_u32_e32 v0, 1, v0
	global_store_dword v[8:9], v6, off
	s_branch .LBB3_50
.LBB3_55:
	s_or_b64 exec, exec, s[22:23]
	s_barrier
	s_and_saveexec_b64 s[18:19], s[0:1]
	s_cbranch_execz .LBB3_72
; %bb.56:
	s_mov_b64 s[18:19], exec
	v_mbcnt_lo_u32_b32 v0, s18, 0
	v_mbcnt_hi_u32_b32 v0, s19, v0
	v_cmp_eq_u32_e32 vcc, 0, v0
                                        ; implicit-def: $vgpr1
	s_and_saveexec_b64 s[0:1], vcc
	s_cbranch_execz .LBB3_58
; %bb.57:
	s_bcnt1_i32_b64 s3, s[18:19]
	s_sub_i32 s3, 0, s3
	v_mov_b32_e32 v1, 0
	v_mov_b32_e32 v2, s3
	global_atomic_add v1, v1, v2, s[16:17] sc0
.LBB3_58:
	s_or_b64 exec, exec, s[0:1]
	s_waitcnt vmcnt(0)
	v_readfirstlane_b32 s0, v1
	s_nop 1
	v_sub_u32_e32 v0, s0, v0
	v_cmp_eq_u32_e32 vcc, 0, v0
	s_and_b64 exec, exec, vcc
	s_cbranch_execz .LBB3_72
; %bb.59:
	v_mov_b32_e32 v0, 0
	global_load_dword v1, v0, s[8:9]
	global_load_dword v2, v0, s[10:11]
	;; [unrolled: 1-line block ×4, first 2 shown]
	s_waitcnt vmcnt(3)
	v_readfirstlane_b32 s14, v1
	s_waitcnt vmcnt(2)
	v_cmp_le_u32_e32 vcc, v2, v1
	v_readfirstlane_b32 s0, v2
	s_waitcnt vmcnt(1)
	v_readfirstlane_b32 s8, v3
	s_waitcnt vmcnt(0)
	v_readfirstlane_b32 s3, v4
	s_cbranch_vccnz .LBB3_67
; %bb.60:
	s_sub_i32 s1, s0, s14
	s_mov_b64 s[12:13], -1
	s_cmp_lt_u32 s1, 2
	s_mov_b32 s10, s14
	s_cbranch_scc1 .LBB3_64
; %bb.61:
	s_and_b32 s9, s1, -2
	s_mov_b32 s12, s30
	s_mov_b32 s13, s30
	;; [unrolled: 1-line block ×3, first 2 shown]
	v_mov_b32_e32 v1, 0
	v_mov_b64_e32 v[2:3], s[12:13]
	s_mov_b32 s10, s14
	s_mov_b32 s12, s9
.LBB3_62:                               ; =>This Inner Loop Header: Depth=1
	s_lshl_b64 s[16:17], s[10:11], 2
	s_add_u32 s16, s20, s16
	s_addc_u32 s17, s21, s17
	s_add_i32 s12, s12, -2
	s_add_i32 s10, s10, 2
	s_cmp_lg_u32 s12, 0
	global_store_dwordx2 v1, v[2:3], s[16:17]
	s_cbranch_scc1 .LBB3_62
; %bb.63:
	s_add_i32 s10, s14, s9
	s_cmp_lg_u32 s1, s9
	s_cselect_b64 s[12:13], -1, 0
.LBB3_64:
	s_and_b64 vcc, exec, s[12:13]
	s_cbranch_vccz .LBB3_67
; %bb.65:
	s_mov_b32 s11, 0
	s_lshl_b64 s[12:13], s[10:11], 2
	s_add_u32 s12, s20, s12
	s_addc_u32 s13, s21, s13
	v_mov_b32_e32 v1, 0
	v_mov_b32_e32 v2, s30
.LBB3_66:                               ; =>This Inner Loop Header: Depth=1
	s_add_i32 s10, s10, 1
	global_store_dword v1, v2, s[12:13]
	s_add_u32 s12, s12, 4
	s_addc_u32 s13, s13, 0
	s_cmp_lt_u32 s10, s0
	s_cbranch_scc1 .LBB3_66
.LBB3_67:
	s_mov_b32 s9, 0
	s_lshl_b64 s[10:11], s[8:9], 2
	s_add_u32 s10, s4, s10
	s_addc_u32 s11, s5, s11
	global_load_dword v2, v0, s[10:11]
	s_add_i32 s10, s3, -1
	s_mov_b32 s11, s9
	s_lshl_b64 s[10:11], s[10:11], 2
	s_add_u32 s10, s4, s10
	s_addc_u32 s11, s5, s11
	global_load_dword v1, v0, s[10:11]
	s_cmp_ge_u32 s8, s14
	s_waitcnt vmcnt(1)
	v_cvt_u32_f32_e32 v0, v2
	s_cbranch_scc1 .LBB3_69
; %bb.68:
	s_add_i32 s1, s8, s14
	s_lshr_b32 s10, s1, 1
	s_mov_b32 s11, s9
	s_lshl_b64 s[10:11], s[10:11], 2
	s_add_u32 s10, s4, s10
	s_addc_u32 s11, s5, s11
	v_mov_b32_e32 v2, 0
	global_load_dword v3, v2, s[10:11]
	s_add_i32 s10, s14, -1
	s_mov_b32 s11, s9
	s_lshl_b64 s[10:11], s[10:11], 2
	s_add_u32 s10, s4, s10
	s_addc_u32 s11, s5, s11
	global_load_dword v2, v2, s[10:11]
	s_waitcnt vmcnt(1)
	v_cvt_u32_f32_e32 v3, v3
	v_max_u32_e32 v4, v0, v3
	v_min_u32_e32 v0, v0, v3
	s_waitcnt vmcnt(0)
	v_cvt_u32_f32_e32 v2, v2
	v_max_u32_e32 v0, v0, v2
	v_cmp_lt_u32_e32 vcc, v4, v2
	s_nop 1
	v_cndmask_b32_e32 v0, v0, v4, vcc
.LBB3_69:
	s_waitcnt vmcnt(0)
	v_cvt_u32_f32_e32 v1, v1
	s_cmp_ge_u32 s0, s3
	s_cbranch_scc1 .LBB3_71
; %bb.70:
	s_mov_b32 s1, 0
	s_lshl_b64 s[10:11], s[0:1], 2
	s_add_u32 s10, s4, s10
	s_addc_u32 s11, s5, s11
	s_add_i32 s9, s3, s0
	s_lshr_b32 s12, s9, 1
	s_mov_b32 s13, s1
	s_lshl_b64 s[12:13], s[12:13], 2
	v_mov_b32_e32 v2, 0
	s_add_u32 s4, s4, s12
	s_addc_u32 s5, s5, s13
	global_load_dword v3, v2, s[10:11]
	global_load_dword v4, v2, s[4:5]
	s_waitcnt vmcnt(1)
	v_cvt_u32_f32_e32 v2, v3
	s_waitcnt vmcnt(0)
	v_cvt_u32_f32_e32 v3, v4
	v_max_u32_e32 v4, v2, v3
	v_min_u32_e32 v2, v2, v3
	v_max_u32_e32 v2, v2, v1
	v_cmp_lt_u32_e32 vcc, v4, v1
	s_nop 1
	v_cndmask_b32_e32 v1, v2, v4, vcc
.LBB3_71:
	s_lshl_b32 s4, s2, 1
	s_mov_b32 s5, 0
	s_lshl_b64 s[4:5], s[4:5], 4
	v_cvt_f32_u32_e32 v4, v0
	s_add_u32 s4, s6, s4
	s_addc_u32 s5, s7, s5
	s_xor_b32 s1, s31, 1
	v_mov_b32_e32 v6, 0
	v_mov_b32_e32 v2, s8
	;; [unrolled: 1-line block ×4, first 2 shown]
	global_store_dwordx4 v6, v[2:5], s[4:5]
	s_nop 1
	v_cvt_f32_u32_e32 v4, v1
	v_mov_b32_e32 v2, s0
	v_mov_b32_e32 v3, s3
	global_store_dwordx4 v6, v[2:5], s[4:5] offset:16
.LBB3_72:
	s_endpgm
	.section	.rodata,"a",@progbits
	.p2align	6, 0x0
	.amdhsa_kernel _Z13gqsort_kernelIfEvPT_S1_P12block_recordIS0_EP13parent_recordP11work_recordIS0_E
		.amdhsa_group_segment_fixed_size 1048
		.amdhsa_private_segment_fixed_size 0
		.amdhsa_kernarg_size 40
		.amdhsa_user_sgpr_count 2
		.amdhsa_user_sgpr_dispatch_ptr 0
		.amdhsa_user_sgpr_queue_ptr 0
		.amdhsa_user_sgpr_kernarg_segment_ptr 1
		.amdhsa_user_sgpr_dispatch_id 0
		.amdhsa_user_sgpr_kernarg_preload_length 0
		.amdhsa_user_sgpr_kernarg_preload_offset 0
		.amdhsa_user_sgpr_private_segment_size 0
		.amdhsa_uses_dynamic_stack 0
		.amdhsa_enable_private_segment 0
		.amdhsa_system_sgpr_workgroup_id_x 1
		.amdhsa_system_sgpr_workgroup_id_y 0
		.amdhsa_system_sgpr_workgroup_id_z 0
		.amdhsa_system_sgpr_workgroup_info 0
		.amdhsa_system_vgpr_workitem_id 0
		.amdhsa_next_free_vgpr 20
		.amdhsa_next_free_sgpr 36
		.amdhsa_accum_offset 20
		.amdhsa_reserve_vcc 1
		.amdhsa_float_round_mode_32 0
		.amdhsa_float_round_mode_16_64 0
		.amdhsa_float_denorm_mode_32 3
		.amdhsa_float_denorm_mode_16_64 3
		.amdhsa_dx10_clamp 1
		.amdhsa_ieee_mode 1
		.amdhsa_fp16_overflow 0
		.amdhsa_tg_split 0
		.amdhsa_exception_fp_ieee_invalid_op 0
		.amdhsa_exception_fp_denorm_src 0
		.amdhsa_exception_fp_ieee_div_zero 0
		.amdhsa_exception_fp_ieee_overflow 0
		.amdhsa_exception_fp_ieee_underflow 0
		.amdhsa_exception_fp_ieee_inexact 0
		.amdhsa_exception_int_div_zero 0
	.end_amdhsa_kernel
	.section	.text._Z13gqsort_kernelIfEvPT_S1_P12block_recordIS0_EP13parent_recordP11work_recordIS0_E,"axG",@progbits,_Z13gqsort_kernelIfEvPT_S1_P12block_recordIS0_EP13parent_recordP11work_recordIS0_E,comdat
.Lfunc_end3:
	.size	_Z13gqsort_kernelIfEvPT_S1_P12block_recordIS0_EP13parent_recordP11work_recordIS0_E, .Lfunc_end3-_Z13gqsort_kernelIfEvPT_S1_P12block_recordIS0_EP13parent_recordP11work_recordIS0_E
                                        ; -- End function
	.set _Z13gqsort_kernelIfEvPT_S1_P12block_recordIS0_EP13parent_recordP11work_recordIS0_E.num_vgpr, 20
	.set _Z13gqsort_kernelIfEvPT_S1_P12block_recordIS0_EP13parent_recordP11work_recordIS0_E.num_agpr, 0
	.set _Z13gqsort_kernelIfEvPT_S1_P12block_recordIS0_EP13parent_recordP11work_recordIS0_E.numbered_sgpr, 36
	.set _Z13gqsort_kernelIfEvPT_S1_P12block_recordIS0_EP13parent_recordP11work_recordIS0_E.num_named_barrier, 0
	.set _Z13gqsort_kernelIfEvPT_S1_P12block_recordIS0_EP13parent_recordP11work_recordIS0_E.private_seg_size, 0
	.set _Z13gqsort_kernelIfEvPT_S1_P12block_recordIS0_EP13parent_recordP11work_recordIS0_E.uses_vcc, 1
	.set _Z13gqsort_kernelIfEvPT_S1_P12block_recordIS0_EP13parent_recordP11work_recordIS0_E.uses_flat_scratch, 0
	.set _Z13gqsort_kernelIfEvPT_S1_P12block_recordIS0_EP13parent_recordP11work_recordIS0_E.has_dyn_sized_stack, 0
	.set _Z13gqsort_kernelIfEvPT_S1_P12block_recordIS0_EP13parent_recordP11work_recordIS0_E.has_recursion, 0
	.set _Z13gqsort_kernelIfEvPT_S1_P12block_recordIS0_EP13parent_recordP11work_recordIS0_E.has_indirect_call, 0
	.section	.AMDGPU.csdata,"",@progbits
; Kernel info:
; codeLenInByte = 3440
; TotalNumSgprs: 42
; NumVgprs: 20
; NumAgprs: 0
; TotalNumVgprs: 20
; ScratchSize: 0
; MemoryBound: 0
; FloatMode: 240
; IeeeMode: 1
; LDSByteSize: 1048 bytes/workgroup (compile time only)
; SGPRBlocks: 5
; VGPRBlocks: 2
; NumSGPRsForWavesPerEU: 42
; NumVGPRsForWavesPerEU: 20
; AccumOffset: 20
; Occupancy: 8
; WaveLimiterHint : 1
; COMPUTE_PGM_RSRC2:SCRATCH_EN: 0
; COMPUTE_PGM_RSRC2:USER_SGPR: 2
; COMPUTE_PGM_RSRC2:TRAP_HANDLER: 0
; COMPUTE_PGM_RSRC2:TGID_X_EN: 1
; COMPUTE_PGM_RSRC2:TGID_Y_EN: 0
; COMPUTE_PGM_RSRC2:TGID_Z_EN: 0
; COMPUTE_PGM_RSRC2:TIDIG_COMP_CNT: 0
; COMPUTE_PGM_RSRC3_GFX90A:ACCUM_OFFSET: 4
; COMPUTE_PGM_RSRC3_GFX90A:TG_SPLIT: 0
	.text
	.p2align	2                               ; -- Begin function _Z14sort_thresholdIfEvPT_S1_jjS1_j
	.type	_Z14sort_thresholdIfEvPT_S1_jjS1_j,@function
_Z14sort_thresholdIfEvPT_S1_jjS1_j:     ; @_Z14sort_thresholdIfEvPT_S1_jjS1_j
; %bb.0:
	s_waitcnt vmcnt(0) expcnt(0) lgkmcnt(0)
	v_sub_u32_e32 v5, v5, v4
	s_movk_i32 s0, 0x100
	v_cmp_ne_u32_e32 vcc, s0, v5
	s_and_saveexec_b64 s[0:1], vcc
	s_xor_b64 s[2:3], exec, s[0:1]
	s_cbranch_execnz .LBB4_3
; %bb.1:
	s_andn2_saveexec_b64 s[0:1], s[2:3]
	s_cbranch_execnz .LBB4_18
.LBB4_2:
	s_or_b64 exec, exec, s[0:1]
	s_waitcnt vmcnt(0) lgkmcnt(0)
	s_setpc_b64 s[30:31]
.LBB4_3:
	v_cmp_gt_u32_e32 vcc, 2, v5
	s_and_saveexec_b64 s[0:1], vcc
	s_xor_b64 s[4:5], exec, s[0:1]
	s_cbranch_execz .LBB4_7
; %bb.4:
	v_cmp_eq_u32_e32 vcc, 1, v5
	v_cmp_eq_u32_e64 s[0:1], 0, v6
	s_and_b64 s[6:7], vcc, s[0:1]
	s_and_saveexec_b64 s[0:1], s[6:7]
	s_cbranch_execz .LBB4_6
; %bb.5:
	v_mov_b32_e32 v5, 0
	v_lshlrev_b64 v[4:5], 2, v[4:5]
	v_lshl_add_u64 v[0:1], v[0:1], 0, v[4:5]
	flat_load_dword v6, v[0:1]
	v_lshl_add_u64 v[0:1], v[2:3], 0, v[4:5]
	s_waitcnt vmcnt(0) lgkmcnt(0)
	flat_store_dword v[0:1], v6
.LBB4_6:
	s_or_b64 exec, exec, s[0:1]
                                        ; implicit-def: $vgpr6
                                        ; implicit-def: $vgpr5
                                        ; implicit-def: $vgpr4
                                        ; implicit-def: $vgpr2_vgpr3
                                        ; implicit-def: $vgpr0_vgpr1
.LBB4_7:
	s_andn2_saveexec_b64 s[0:1], s[4:5]
	s_cbranch_execz .LBB4_17
; %bb.8:
	s_movk_i32 s4, 0x100
	v_cmp_gt_u32_e32 vcc, s4, v6
	s_and_saveexec_b64 s[4:5], vcc
	s_cbranch_execz .LBB4_13
; %bb.9:
	v_mov_b32_e32 v7, 0x3600
	v_lshl_add_u32 v7, v6, 2, v7
	s_mov_b64 s[6:7], 0
	v_mov_b32_e32 v9, 0
	s_movk_i32 s10, 0x7f
	v_mov_b32_e32 v10, v6
	s_branch .LBB4_11
.LBB4_10:                               ;   in Loop: Header=BB4_11 Depth=1
	s_or_b64 exec, exec, s[8:9]
	s_waitcnt vmcnt(0) lgkmcnt(0)
	ds_write_b32 v7, v8
	v_add_u32_e32 v8, 0x80, v10
	v_cmp_lt_u32_e32 vcc, s10, v10
	v_add_u32_e32 v7, 0x200, v7
	s_or_b64 s[6:7], vcc, s[6:7]
	v_mov_b32_e32 v10, v8
	s_andn2_b64 exec, exec, s[6:7]
	s_cbranch_execz .LBB4_13
.LBB4_11:                               ; =>This Inner Loop Header: Depth=1
	v_cmp_lt_u32_e32 vcc, v10, v5
	v_mov_b32_e32 v8, 0x4f800000
	s_and_saveexec_b64 s[8:9], vcc
	s_cbranch_execz .LBB4_10
; %bb.12:                               ;   in Loop: Header=BB4_11 Depth=1
	v_add_u32_e32 v8, v4, v10
	v_lshl_add_u64 v[12:13], v[8:9], 2, v[0:1]
	flat_load_dword v8, v[12:13]
	s_branch .LBB4_10
.LBB4_13:
	s_or_b64 exec, exec, s[4:5]
	v_lshlrev_b32_e32 v0, 3, v6
	s_waitcnt lgkmcnt(0)
	s_barrier
	ds_read_b64 v[8:9], v0 offset:13824
	s_waitcnt lgkmcnt(0)
	v_cvt_u32_f32_e32 v1, v8
	v_cvt_u32_f32_e32 v7, v9
	v_and_b32_e32 v9, 1, v6
	v_cmp_eq_u32_e32 vcc, 0, v9
	v_max_u32_e32 v8, v1, v7
	v_min_u32_e32 v1, v1, v7
	v_cndmask_b32_e32 v7, v8, v1, vcc
	v_cndmask_b32_e32 v1, v1, v8, vcc
	v_cvt_f32_u32_e32 v10, v7
	v_cvt_f32_u32_e32 v11, v1
	v_lshlrev_b32_e32 v8, 1, v6
	v_sub_u32_e32 v1, v8, v9
	v_lshlrev_b32_e32 v1, 2, v1
	v_add_u32_e32 v1, 0x3400, v1
	ds_write_b64 v0, v[10:11] offset:13824
	s_waitcnt lgkmcnt(0)
	s_barrier
	ds_read2_b32 v[10:11], v1 offset0:128 offset1:130
	s_waitcnt lgkmcnt(0)
	v_cvt_u32_f32_e32 v7, v10
	v_cvt_u32_f32_e32 v9, v11
	v_and_b32_e32 v10, 2, v6
	v_cmp_eq_u32_e32 vcc, 0, v10
	v_max_u32_e32 v11, v7, v9
	v_min_u32_e32 v7, v7, v9
	v_cndmask_b32_e32 v9, v11, v7, vcc
	v_cndmask_b32_e32 v7, v7, v11, vcc
	v_cvt_f32_u32_e32 v9, v9
	v_cvt_f32_u32_e32 v7, v7
	ds_write2_b32 v1, v9, v7 offset0:128 offset1:130
	s_waitcnt lgkmcnt(0)
	s_barrier
	ds_read_b64 v[10:11], v0 offset:13824
	s_waitcnt lgkmcnt(0)
	v_cvt_u32_f32_e32 v7, v10
	v_cvt_u32_f32_e32 v9, v11
	v_max_u32_e32 v11, v7, v9
	v_min_u32_e32 v7, v7, v9
	v_cndmask_b32_e32 v9, v11, v7, vcc
	v_cndmask_b32_e32 v7, v7, v11, vcc
	v_cvt_f32_u32_e32 v10, v9
	v_cvt_f32_u32_e32 v11, v7
	v_and_b32_e32 v7, 3, v6
	v_sub_u32_e32 v7, v8, v7
	v_lshlrev_b32_e32 v7, 2, v7
	v_add_u32_e32 v7, 0x3400, v7
	ds_write_b64 v0, v[10:11] offset:13824
	s_waitcnt lgkmcnt(0)
	s_barrier
	ds_read2_b32 v[10:11], v7 offset0:128 offset1:132
	s_waitcnt lgkmcnt(0)
	v_cvt_u32_f32_e32 v9, v10
	v_cvt_u32_f32_e32 v10, v11
	v_and_b32_e32 v11, 4, v6
	v_cmp_eq_u32_e32 vcc, 0, v11
	v_max_u32_e32 v12, v9, v10
	v_min_u32_e32 v9, v9, v10
	v_cndmask_b32_e32 v10, v12, v9, vcc
	v_cndmask_b32_e32 v9, v9, v12, vcc
	v_cvt_f32_u32_e32 v10, v10
	v_cvt_f32_u32_e32 v9, v9
	v_and_b32_e32 v12, 8, v6
	ds_write2_b32 v7, v10, v9 offset0:128 offset1:132
	s_waitcnt lgkmcnt(0)
	s_barrier
	ds_read2_b32 v[10:11], v1 offset0:128 offset1:130
	s_waitcnt lgkmcnt(0)
	v_cvt_u32_f32_e32 v9, v10
	v_cvt_u32_f32_e32 v10, v11
	v_max_u32_e32 v11, v9, v10
	v_min_u32_e32 v9, v9, v10
	v_cndmask_b32_e32 v10, v11, v9, vcc
	v_cndmask_b32_e32 v9, v9, v11, vcc
	v_cvt_f32_u32_e32 v10, v10
	v_cvt_f32_u32_e32 v9, v9
	ds_write2_b32 v1, v10, v9 offset0:128 offset1:130
	s_waitcnt lgkmcnt(0)
	s_barrier
	ds_read_b64 v[10:11], v0 offset:13824
	s_waitcnt lgkmcnt(0)
	v_cvt_u32_f32_e32 v9, v10
	v_cvt_u32_f32_e32 v10, v11
	v_max_u32_e32 v11, v9, v10
	v_min_u32_e32 v9, v9, v10
	v_cndmask_b32_e32 v10, v11, v9, vcc
	v_cndmask_b32_e32 v9, v9, v11, vcc
	v_cvt_f32_u32_e32 v10, v10
	v_cvt_f32_u32_e32 v11, v9
	v_and_b32_e32 v9, 7, v6
	v_sub_u32_e32 v9, v8, v9
	v_lshlrev_b32_e32 v9, 2, v9
	v_add_u32_e32 v9, 0x3400, v9
	ds_write_b64 v0, v[10:11] offset:13824
	s_waitcnt lgkmcnt(0)
	s_barrier
	ds_read2_b32 v[10:11], v9 offset0:128 offset1:136
	v_cmp_eq_u32_e32 vcc, 0, v12
	s_waitcnt lgkmcnt(0)
	v_cvt_u32_f32_e32 v10, v10
	v_cvt_u32_f32_e32 v11, v11
	v_max_u32_e32 v13, v10, v11
	v_min_u32_e32 v10, v10, v11
	v_cndmask_b32_e32 v11, v13, v10, vcc
	v_cndmask_b32_e32 v10, v10, v13, vcc
	v_cvt_f32_u32_e32 v11, v11
	v_cvt_f32_u32_e32 v10, v10
	ds_write2_b32 v9, v11, v10 offset0:128 offset1:136
	s_waitcnt lgkmcnt(0)
	s_barrier
	ds_read2_b32 v[10:11], v7 offset0:128 offset1:132
	s_waitcnt lgkmcnt(0)
	v_cvt_u32_f32_e32 v10, v10
	v_cvt_u32_f32_e32 v11, v11
	v_max_u32_e32 v12, v10, v11
	v_min_u32_e32 v10, v10, v11
	v_cndmask_b32_e32 v11, v12, v10, vcc
	v_cndmask_b32_e32 v10, v10, v12, vcc
	v_cvt_f32_u32_e32 v11, v11
	v_cvt_f32_u32_e32 v10, v10
	ds_write2_b32 v7, v11, v10 offset0:128 offset1:132
	s_waitcnt lgkmcnt(0)
	s_barrier
	ds_read2_b32 v[10:11], v1 offset0:128 offset1:130
	s_waitcnt lgkmcnt(0)
	v_cvt_u32_f32_e32 v10, v10
	v_cvt_u32_f32_e32 v11, v11
	v_max_u32_e32 v12, v10, v11
	v_min_u32_e32 v10, v10, v11
	v_cndmask_b32_e32 v11, v12, v10, vcc
	v_cndmask_b32_e32 v10, v10, v12, vcc
	v_cvt_f32_u32_e32 v11, v11
	v_cvt_f32_u32_e32 v10, v10
	ds_write2_b32 v1, v11, v10 offset0:128 offset1:130
	s_waitcnt lgkmcnt(0)
	s_barrier
	ds_read_b64 v[10:11], v0 offset:13824
	s_waitcnt lgkmcnt(0)
	v_cvt_u32_f32_e32 v10, v10
	v_cvt_u32_f32_e32 v11, v11
	v_max_u32_e32 v12, v10, v11
	v_min_u32_e32 v11, v10, v11
	v_cndmask_b32_e32 v10, v12, v11, vcc
	v_cndmask_b32_e32 v11, v11, v12, vcc
	v_cvt_f32_u32_e32 v10, v10
	v_cvt_f32_u32_e32 v11, v11
	ds_write_b64 v0, v[10:11] offset:13824
	v_and_b32_e32 v10, 15, v6
	v_sub_u32_e32 v10, v8, v10
	v_lshlrev_b32_e32 v10, 2, v10
	v_add_u32_e32 v10, 0x3400, v10
	s_waitcnt lgkmcnt(0)
	s_barrier
	ds_read2_b32 v[12:13], v10 offset0:128 offset1:144
	s_waitcnt lgkmcnt(0)
	v_cvt_u32_f32_e32 v11, v12
	v_cvt_u32_f32_e32 v12, v13
	v_and_b32_e32 v13, 16, v6
	v_cmp_eq_u32_e32 vcc, 0, v13
	v_max_u32_e32 v14, v11, v12
	v_min_u32_e32 v11, v11, v12
	v_cndmask_b32_e32 v12, v14, v11, vcc
	v_cndmask_b32_e32 v11, v11, v14, vcc
	v_cvt_f32_u32_e32 v12, v12
	v_cvt_f32_u32_e32 v11, v11
	v_and_b32_e32 v14, 32, v6
	ds_write2_b32 v10, v12, v11 offset0:128 offset1:144
	s_waitcnt lgkmcnt(0)
	s_barrier
	ds_read2_b32 v[12:13], v9 offset0:128 offset1:136
	s_waitcnt lgkmcnt(0)
	v_cvt_u32_f32_e32 v11, v12
	v_cvt_u32_f32_e32 v12, v13
	v_max_u32_e32 v13, v11, v12
	v_min_u32_e32 v11, v11, v12
	v_cndmask_b32_e32 v12, v13, v11, vcc
	v_cndmask_b32_e32 v11, v11, v13, vcc
	v_cvt_f32_u32_e32 v12, v12
	v_cvt_f32_u32_e32 v11, v11
	ds_write2_b32 v9, v12, v11 offset0:128 offset1:136
	s_waitcnt lgkmcnt(0)
	s_barrier
	ds_read2_b32 v[12:13], v7 offset0:128 offset1:132
	s_waitcnt lgkmcnt(0)
	v_cvt_u32_f32_e32 v11, v12
	v_cvt_u32_f32_e32 v12, v13
	v_max_u32_e32 v13, v11, v12
	v_min_u32_e32 v11, v11, v12
	v_cndmask_b32_e32 v12, v13, v11, vcc
	v_cndmask_b32_e32 v11, v11, v13, vcc
	v_cvt_f32_u32_e32 v12, v12
	v_cvt_f32_u32_e32 v11, v11
	;; [unrolled: 13-line block ×3, first 2 shown]
	ds_write2_b32 v1, v12, v11 offset0:128 offset1:130
	s_waitcnt lgkmcnt(0)
	s_barrier
	ds_read_b64 v[12:13], v0 offset:13824
	s_waitcnt lgkmcnt(0)
	v_cvt_u32_f32_e32 v11, v12
	v_cvt_u32_f32_e32 v12, v13
	v_max_u32_e32 v13, v11, v12
	v_min_u32_e32 v11, v11, v12
	v_cndmask_b32_e32 v12, v13, v11, vcc
	v_cndmask_b32_e32 v11, v11, v13, vcc
	v_cvt_f32_u32_e32 v12, v12
	v_cvt_f32_u32_e32 v13, v11
	v_and_b32_e32 v11, 31, v6
	v_sub_u32_e32 v11, v8, v11
	v_lshlrev_b32_e32 v11, 2, v11
	v_add_u32_e32 v11, 0x3400, v11
	ds_write_b64 v0, v[12:13] offset:13824
	s_waitcnt lgkmcnt(0)
	s_barrier
	ds_read2_b32 v[12:13], v11 offset0:128 offset1:160
	v_cmp_eq_u32_e32 vcc, 0, v14
	s_waitcnt lgkmcnt(0)
	v_cvt_u32_f32_e32 v12, v12
	v_cvt_u32_f32_e32 v13, v13
	v_max_u32_e32 v15, v12, v13
	v_min_u32_e32 v12, v12, v13
	v_cndmask_b32_e32 v13, v15, v12, vcc
	v_cndmask_b32_e32 v12, v12, v15, vcc
	v_cvt_f32_u32_e32 v13, v13
	v_cvt_f32_u32_e32 v12, v12
	v_and_b32_e32 v15, 64, v6
	ds_write2_b32 v11, v13, v12 offset0:128 offset1:160
	s_waitcnt lgkmcnt(0)
	s_barrier
	ds_read2_b32 v[12:13], v10 offset0:128 offset1:144
	s_waitcnt lgkmcnt(0)
	v_cvt_u32_f32_e32 v12, v12
	v_cvt_u32_f32_e32 v13, v13
	v_max_u32_e32 v14, v12, v13
	v_min_u32_e32 v12, v12, v13
	v_cndmask_b32_e32 v13, v14, v12, vcc
	v_cndmask_b32_e32 v12, v12, v14, vcc
	v_cvt_f32_u32_e32 v13, v13
	v_cvt_f32_u32_e32 v12, v12
	ds_write2_b32 v10, v13, v12 offset0:128 offset1:144
	s_waitcnt lgkmcnt(0)
	s_barrier
	ds_read2_b32 v[12:13], v9 offset0:128 offset1:136
	s_waitcnt lgkmcnt(0)
	v_cvt_u32_f32_e32 v12, v12
	v_cvt_u32_f32_e32 v13, v13
	v_max_u32_e32 v14, v12, v13
	v_min_u32_e32 v12, v12, v13
	v_cndmask_b32_e32 v13, v14, v12, vcc
	v_cndmask_b32_e32 v12, v12, v14, vcc
	v_cvt_f32_u32_e32 v13, v13
	v_cvt_f32_u32_e32 v12, v12
	;; [unrolled: 13-line block ×4, first 2 shown]
	ds_write2_b32 v1, v13, v12 offset0:128 offset1:130
	s_waitcnt lgkmcnt(0)
	s_barrier
	ds_read_b64 v[12:13], v0 offset:13824
	s_waitcnt lgkmcnt(0)
	v_cvt_u32_f32_e32 v12, v12
	v_cvt_u32_f32_e32 v13, v13
	v_max_u32_e32 v14, v12, v13
	v_min_u32_e32 v12, v12, v13
	v_cndmask_b32_e32 v13, v14, v12, vcc
	v_cndmask_b32_e32 v14, v12, v14, vcc
	v_cvt_f32_u32_e32 v12, v13
	v_cvt_f32_u32_e32 v13, v14
	v_and_b32_e32 v14, 63, v6
	v_sub_u32_e32 v14, v8, v14
	v_lshlrev_b32_e32 v14, 2, v14
	ds_write_b64 v0, v[12:13] offset:13824
	s_waitcnt lgkmcnt(0)
	s_barrier
	ds_read2st64_b32 v[12:13], v14 offset0:54 offset1:55
	v_cmp_eq_u32_e32 vcc, 0, v15
	s_waitcnt lgkmcnt(0)
	v_cvt_u32_f32_e32 v12, v12
	v_cvt_u32_f32_e32 v13, v13
	v_max_u32_e32 v16, v12, v13
	v_min_u32_e32 v12, v12, v13
	v_cndmask_b32_e32 v13, v16, v12, vcc
	v_cndmask_b32_e32 v12, v12, v16, vcc
	v_cvt_f32_u32_e32 v13, v13
	v_cvt_f32_u32_e32 v12, v12
	ds_write2st64_b32 v14, v13, v12 offset0:54 offset1:55
	s_waitcnt lgkmcnt(0)
	s_barrier
	ds_read2_b32 v[12:13], v11 offset0:128 offset1:160
	s_waitcnt lgkmcnt(0)
	v_cvt_u32_f32_e32 v12, v12
	v_cvt_u32_f32_e32 v13, v13
	v_max_u32_e32 v15, v12, v13
	v_min_u32_e32 v12, v12, v13
	v_cndmask_b32_e32 v13, v15, v12, vcc
	v_cndmask_b32_e32 v12, v12, v15, vcc
	v_cvt_f32_u32_e32 v13, v13
	v_cvt_f32_u32_e32 v12, v12
	ds_write2_b32 v11, v13, v12 offset0:128 offset1:160
	s_waitcnt lgkmcnt(0)
	s_barrier
	ds_read2_b32 v[12:13], v10 offset0:128 offset1:144
	s_waitcnt lgkmcnt(0)
	v_cvt_u32_f32_e32 v12, v12
	v_cvt_u32_f32_e32 v13, v13
	v_max_u32_e32 v15, v12, v13
	v_min_u32_e32 v12, v12, v13
	v_cndmask_b32_e32 v13, v15, v12, vcc
	v_cndmask_b32_e32 v12, v12, v15, vcc
	v_cvt_f32_u32_e32 v13, v13
	v_cvt_f32_u32_e32 v12, v12
	ds_write2_b32 v10, v13, v12 offset0:128 offset1:144
	;; [unrolled: 13-line block ×5, first 2 shown]
	s_waitcnt lgkmcnt(0)
	s_barrier
	ds_read_b64 v[12:13], v0 offset:13824
	s_waitcnt lgkmcnt(0)
	v_cvt_u32_f32_e32 v12, v12
	v_cvt_u32_f32_e32 v13, v13
	v_max_u32_e32 v15, v12, v13
	v_min_u32_e32 v12, v12, v13
	v_cndmask_b32_e32 v13, v15, v12, vcc
	v_cndmask_b32_e32 v15, v12, v15, vcc
	v_cvt_f32_u32_e32 v12, v13
	v_cvt_f32_u32_e32 v13, v15
	v_and_b32_e32 v15, 0x7f, v6
	v_sub_u32_e32 v8, v8, v15
	v_lshlrev_b32_e32 v8, 2, v8
	ds_write_b64 v0, v[12:13] offset:13824
	s_waitcnt lgkmcnt(0)
	s_barrier
	ds_read2st64_b32 v[12:13], v8 offset0:54 offset1:56
	v_cmp_lt_u32_e32 vcc, v6, v5
	s_waitcnt lgkmcnt(0)
	v_cvt_u32_f32_e32 v12, v12
	v_cvt_u32_f32_e32 v13, v13
	v_min_u32_e32 v15, v12, v13
	v_max_u32_e32 v12, v12, v13
	v_cvt_f32_u32_e32 v13, v15
	v_cvt_f32_u32_e32 v12, v12
	ds_write2st64_b32 v8, v13, v12 offset0:54 offset1:56
	s_waitcnt lgkmcnt(0)
	s_barrier
	ds_read2st64_b32 v[12:13], v14 offset0:54 offset1:55
	s_waitcnt lgkmcnt(0)
	v_cvt_u32_f32_e32 v8, v12
	v_cvt_u32_f32_e32 v12, v13
	v_min_u32_e32 v13, v8, v12
	v_max_u32_e32 v8, v8, v12
	v_cvt_f32_u32_e32 v12, v13
	v_cvt_f32_u32_e32 v8, v8
	ds_write2st64_b32 v14, v12, v8 offset0:54 offset1:55
	s_waitcnt lgkmcnt(0)
	s_barrier
	ds_read2_b32 v[12:13], v11 offset0:128 offset1:160
	s_waitcnt lgkmcnt(0)
	v_cvt_u32_f32_e32 v8, v12
	v_cvt_u32_f32_e32 v12, v13
	v_min_u32_e32 v13, v8, v12
	v_max_u32_e32 v8, v8, v12
	v_cvt_f32_u32_e32 v12, v13
	v_cvt_f32_u32_e32 v8, v8
	ds_write2_b32 v11, v12, v8 offset0:128 offset1:160
	s_waitcnt lgkmcnt(0)
	s_barrier
	ds_read2_b32 v[12:13], v10 offset0:128 offset1:144
	s_waitcnt lgkmcnt(0)
	v_cvt_u32_f32_e32 v8, v12
	v_cvt_u32_f32_e32 v11, v13
	v_min_u32_e32 v12, v8, v11
	v_max_u32_e32 v8, v8, v11
	v_cvt_f32_u32_e32 v11, v12
	v_cvt_f32_u32_e32 v8, v8
	ds_write2_b32 v10, v11, v8 offset0:128 offset1:144
	;; [unrolled: 11-line block ×5, first 2 shown]
	s_waitcnt lgkmcnt(0)
	s_barrier
	ds_read_b64 v[8:9], v0 offset:13824
	s_waitcnt lgkmcnt(0)
	v_cvt_u32_f32_e32 v1, v8
	v_cvt_u32_f32_e32 v7, v9
	v_min_u32_e32 v8, v1, v7
	v_max_u32_e32 v1, v1, v7
	v_cvt_f32_u32_e32 v9, v1
	v_cvt_f32_u32_e32 v8, v8
	ds_write_b64 v0, v[8:9] offset:13824
	s_waitcnt lgkmcnt(0)
	s_barrier
	s_and_saveexec_b64 s[4:5], vcc
	s_cbranch_execz .LBB4_16
; %bb.14:
	v_mov_b32_e32 v0, 0x3600
	v_lshl_add_u32 v7, v6, 2, v0
	s_mov_b64 s[6:7], 0
	v_mov_b32_e32 v1, 0
.LBB4_15:                               ; =>This Inner Loop Header: Depth=1
	ds_read_b32 v10, v7
	v_add_u32_e32 v0, v4, v6
	v_add_u32_e32 v6, 0x80, v6
	v_cmp_ge_u32_e32 vcc, v6, v5
	v_add_u32_e32 v7, 0x200, v7
	v_lshl_add_u64 v[8:9], v[0:1], 2, v[2:3]
	s_or_b64 s[6:7], vcc, s[6:7]
	s_waitcnt lgkmcnt(0)
	flat_store_dword v[8:9], v10
	s_andn2_b64 exec, exec, s[6:7]
	s_cbranch_execnz .LBB4_15
.LBB4_16:
	s_or_b64 exec, exec, s[4:5]
.LBB4_17:
	s_or_b64 exec, exec, s[0:1]
                                        ; implicit-def: $vgpr4
                                        ; implicit-def: $vgpr0_vgpr1
                                        ; implicit-def: $vgpr6
                                        ; implicit-def: $vgpr2_vgpr3
	s_andn2_saveexec_b64 s[0:1], s[2:3]
	s_cbranch_execz .LBB4_2
.LBB4_18:
	v_mov_b32_e32 v9, 0
	v_mov_b32_e32 v5, v9
	v_lshl_add_u64 v[18:19], v[4:5], 2, v[0:1]
	v_lshlrev_b32_e32 v8, 1, v6
	v_lshl_add_u64 v[10:11], v[8:9], 2, v[18:19]
	flat_load_dwordx2 v[12:13], v[10:11]
	v_mov_b32_e32 v15, v9
	v_mov_b32_e32 v21, v9
	;; [unrolled: 1-line block ×6, first 2 shown]
	s_movk_i32 s2, 0x100
	s_movk_i32 s6, 0x7f
	s_waitcnt vmcnt(0) lgkmcnt(0)
	v_cvt_u32_f32_e32 v5, v12
	v_cvt_u32_f32_e32 v7, v13
	v_and_b32_e32 v12, 1, v6
	v_cmp_eq_u32_e32 vcc, 0, v12
	v_sub_u32_e32 v14, v8, v12
	v_max_u32_e32 v13, v5, v7
	v_min_u32_e32 v5, v5, v7
	v_cndmask_b32_e32 v7, v13, v5, vcc
	v_cndmask_b32_e32 v5, v5, v13, vcc
	v_cvt_f32_u32_e32 v16, v7
	v_cvt_f32_u32_e32 v17, v5
	v_lshl_add_u64 v[12:13], v[14:15], 2, v[18:19]
	v_ashrrev_i32_e32 v15, 31, v14
	v_lshl_add_u64 v[14:15], v[14:15], 2, v[18:19]
	flat_store_dwordx2 v[10:11], v[16:17]
	s_waitcnt lgkmcnt(0)
	s_barrier
	flat_load_dword v5, v[12:13]
	flat_load_dword v7, v[14:15] offset:8
	v_and_b32_e32 v16, 2, v6
	v_cmp_eq_u32_e32 vcc, 0, v16
	s_waitcnt vmcnt(0) lgkmcnt(0)
	v_cvt_u32_f32_e32 v5, v5
	v_cvt_u32_f32_e32 v7, v7
	v_max_u32_e32 v17, v5, v7
	v_min_u32_e32 v5, v5, v7
	v_cndmask_b32_e32 v7, v17, v5, vcc
	v_cndmask_b32_e32 v5, v5, v17, vcc
	v_cvt_f32_u32_e32 v7, v7
	v_cvt_f32_u32_e32 v5, v5
	flat_store_dword v[12:13], v7
	flat_store_dword v[14:15], v5 offset:8
	s_waitcnt lgkmcnt(0)
	s_barrier
	flat_load_dwordx2 v[16:17], v[10:11]
	s_waitcnt vmcnt(0) lgkmcnt(0)
	v_cvt_u32_f32_e32 v5, v16
	v_cvt_u32_f32_e32 v7, v17
	v_and_b32_e32 v16, 3, v6
	v_sub_u32_e32 v20, v8, v16
	v_max_u32_e32 v16, v5, v7
	v_min_u32_e32 v5, v5, v7
	v_cndmask_b32_e32 v7, v16, v5, vcc
	v_cndmask_b32_e32 v5, v5, v16, vcc
	v_cvt_f32_u32_e32 v22, v7
	v_cvt_f32_u32_e32 v23, v5
	v_lshl_add_u64 v[16:17], v[20:21], 2, v[18:19]
	v_ashrrev_i32_e32 v21, 31, v20
	v_lshl_add_u64 v[20:21], v[20:21], 2, v[18:19]
	flat_store_dwordx2 v[10:11], v[22:23]
	s_waitcnt lgkmcnt(0)
	s_barrier
	flat_load_dword v5, v[16:17]
	flat_load_dword v7, v[20:21] offset:16
	v_and_b32_e32 v22, 4, v6
	v_cmp_eq_u32_e32 vcc, 0, v22
	s_waitcnt vmcnt(0) lgkmcnt(0)
	v_cvt_u32_f32_e32 v5, v5
	v_cvt_u32_f32_e32 v7, v7
	v_max_u32_e32 v23, v5, v7
	v_min_u32_e32 v5, v5, v7
	v_cndmask_b32_e32 v7, v23, v5, vcc
	v_cndmask_b32_e32 v5, v5, v23, vcc
	v_cvt_f32_u32_e32 v7, v7
	v_cvt_f32_u32_e32 v5, v5
	flat_store_dword v[16:17], v7
	flat_store_dword v[20:21], v5 offset:16
	s_waitcnt lgkmcnt(0)
	s_barrier
	flat_load_dword v5, v[12:13]
	flat_load_dword v7, v[14:15] offset:8
	s_waitcnt vmcnt(0) lgkmcnt(0)
	v_cvt_u32_f32_e32 v5, v5
	v_cvt_u32_f32_e32 v7, v7
	v_max_u32_e32 v22, v5, v7
	v_min_u32_e32 v5, v5, v7
	v_cndmask_b32_e32 v7, v22, v5, vcc
	v_cndmask_b32_e32 v5, v5, v22, vcc
	v_cvt_f32_u32_e32 v7, v7
	v_cvt_f32_u32_e32 v5, v5
	flat_store_dword v[12:13], v7
	flat_store_dword v[14:15], v5 offset:8
	s_waitcnt lgkmcnt(0)
	s_barrier
	flat_load_dwordx2 v[22:23], v[10:11]
	s_waitcnt vmcnt(0) lgkmcnt(0)
	v_cvt_u32_f32_e32 v5, v22
	v_cvt_u32_f32_e32 v7, v23
	v_and_b32_e32 v22, 7, v6
	v_sub_u32_e32 v24, v8, v22
	v_max_u32_e32 v22, v5, v7
	v_min_u32_e32 v5, v5, v7
	v_cndmask_b32_e32 v7, v22, v5, vcc
	v_cndmask_b32_e32 v5, v5, v22, vcc
	v_cvt_f32_u32_e32 v26, v7
	v_cvt_f32_u32_e32 v27, v5
	v_lshl_add_u64 v[22:23], v[24:25], 2, v[18:19]
	v_ashrrev_i32_e32 v25, 31, v24
	v_lshl_add_u64 v[24:25], v[24:25], 2, v[18:19]
	flat_store_dwordx2 v[10:11], v[26:27]
	s_waitcnt lgkmcnt(0)
	s_barrier
	flat_load_dword v5, v[22:23]
	flat_load_dword v7, v[24:25] offset:32
	v_and_b32_e32 v26, 8, v6
	v_cmp_eq_u32_e32 vcc, 0, v26
	s_waitcnt vmcnt(0) lgkmcnt(0)
	v_cvt_u32_f32_e32 v5, v5
	v_cvt_u32_f32_e32 v7, v7
	v_max_u32_e32 v27, v5, v7
	v_min_u32_e32 v5, v5, v7
	v_cndmask_b32_e32 v7, v27, v5, vcc
	v_cndmask_b32_e32 v5, v5, v27, vcc
	v_cvt_f32_u32_e32 v7, v7
	v_cvt_f32_u32_e32 v5, v5
	flat_store_dword v[22:23], v7
	flat_store_dword v[24:25], v5 offset:32
	s_waitcnt lgkmcnt(0)
	s_barrier
	flat_load_dword v5, v[16:17]
	flat_load_dword v7, v[20:21] offset:16
	s_waitcnt vmcnt(0) lgkmcnt(0)
	v_cvt_u32_f32_e32 v5, v5
	v_cvt_u32_f32_e32 v7, v7
	v_max_u32_e32 v26, v5, v7
	v_min_u32_e32 v5, v5, v7
	v_cndmask_b32_e32 v7, v26, v5, vcc
	v_cndmask_b32_e32 v5, v5, v26, vcc
	v_cvt_f32_u32_e32 v7, v7
	v_cvt_f32_u32_e32 v5, v5
	flat_store_dword v[16:17], v7
	flat_store_dword v[20:21], v5 offset:16
	s_waitcnt lgkmcnt(0)
	s_barrier
	flat_load_dword v5, v[12:13]
	flat_load_dword v7, v[14:15] offset:8
	s_waitcnt vmcnt(0) lgkmcnt(0)
	v_cvt_u32_f32_e32 v5, v5
	v_cvt_u32_f32_e32 v7, v7
	v_max_u32_e32 v26, v5, v7
	v_min_u32_e32 v5, v5, v7
	v_cndmask_b32_e32 v7, v26, v5, vcc
	v_cndmask_b32_e32 v5, v5, v26, vcc
	v_cvt_f32_u32_e32 v7, v7
	v_cvt_f32_u32_e32 v5, v5
	flat_store_dword v[12:13], v7
	flat_store_dword v[14:15], v5 offset:8
	s_waitcnt lgkmcnt(0)
	s_barrier
	flat_load_dwordx2 v[26:27], v[10:11]
	s_waitcnt vmcnt(0) lgkmcnt(0)
	v_cvt_u32_f32_e32 v5, v26
	v_cvt_u32_f32_e32 v7, v27
	v_and_b32_e32 v26, 15, v6
	v_sub_u32_e32 v28, v8, v26
	v_max_u32_e32 v26, v5, v7
	v_min_u32_e32 v5, v5, v7
	v_cndmask_b32_e32 v7, v26, v5, vcc
	v_cndmask_b32_e32 v5, v5, v26, vcc
	v_cvt_f32_u32_e32 v30, v7
	v_cvt_f32_u32_e32 v31, v5
	v_lshl_add_u64 v[26:27], v[28:29], 2, v[18:19]
	v_ashrrev_i32_e32 v29, 31, v28
	v_lshl_add_u64 v[28:29], v[28:29], 2, v[18:19]
	flat_store_dwordx2 v[10:11], v[30:31]
	s_waitcnt lgkmcnt(0)
	s_barrier
	flat_load_dword v5, v[26:27]
	flat_load_dword v7, v[28:29] offset:64
	v_and_b32_e32 v30, 16, v6
	v_cmp_eq_u32_e32 vcc, 0, v30
	s_waitcnt vmcnt(0) lgkmcnt(0)
	v_cvt_u32_f32_e32 v5, v5
	v_cvt_u32_f32_e32 v7, v7
	v_max_u32_e32 v31, v5, v7
	v_min_u32_e32 v5, v5, v7
	v_cndmask_b32_e32 v7, v31, v5, vcc
	v_cndmask_b32_e32 v5, v5, v31, vcc
	v_cvt_f32_u32_e32 v7, v7
	v_cvt_f32_u32_e32 v5, v5
	flat_store_dword v[26:27], v7
	flat_store_dword v[28:29], v5 offset:64
	s_waitcnt lgkmcnt(0)
	s_barrier
	flat_load_dword v5, v[22:23]
	flat_load_dword v7, v[24:25] offset:32
	s_waitcnt vmcnt(0) lgkmcnt(0)
	v_cvt_u32_f32_e32 v5, v5
	v_cvt_u32_f32_e32 v7, v7
	v_max_u32_e32 v30, v5, v7
	v_min_u32_e32 v5, v5, v7
	v_cndmask_b32_e32 v7, v30, v5, vcc
	v_cndmask_b32_e32 v5, v5, v30, vcc
	v_cvt_f32_u32_e32 v7, v7
	v_cvt_f32_u32_e32 v5, v5
	flat_store_dword v[22:23], v7
	flat_store_dword v[24:25], v5 offset:32
	s_waitcnt lgkmcnt(0)
	s_barrier
	flat_load_dword v5, v[16:17]
	flat_load_dword v7, v[20:21] offset:16
	;; [unrolled: 15-line block ×3, first 2 shown]
	s_waitcnt vmcnt(0) lgkmcnt(0)
	v_cvt_u32_f32_e32 v5, v5
	v_cvt_u32_f32_e32 v7, v7
	v_max_u32_e32 v30, v5, v7
	v_min_u32_e32 v5, v5, v7
	v_cndmask_b32_e32 v7, v30, v5, vcc
	v_cndmask_b32_e32 v5, v5, v30, vcc
	v_cvt_f32_u32_e32 v7, v7
	v_cvt_f32_u32_e32 v5, v5
	flat_store_dword v[12:13], v7
	flat_store_dword v[14:15], v5 offset:8
	s_waitcnt lgkmcnt(0)
	s_barrier
	flat_load_dwordx2 v[30:31], v[10:11]
	s_waitcnt vmcnt(0) lgkmcnt(0)
	v_cvt_u32_f32_e32 v5, v30
	v_cvt_u32_f32_e32 v7, v31
	v_and_b32_e32 v30, 31, v6
	v_sub_u32_e32 v32, v8, v30
	v_max_u32_e32 v30, v5, v7
	v_min_u32_e32 v5, v5, v7
	v_cndmask_b32_e32 v7, v30, v5, vcc
	v_cndmask_b32_e32 v5, v5, v30, vcc
	v_cvt_f32_u32_e32 v34, v7
	v_cvt_f32_u32_e32 v35, v5
	v_lshl_add_u64 v[30:31], v[32:33], 2, v[18:19]
	v_ashrrev_i32_e32 v33, 31, v32
	v_lshl_add_u64 v[32:33], v[32:33], 2, v[18:19]
	flat_store_dwordx2 v[10:11], v[34:35]
	s_waitcnt lgkmcnt(0)
	s_barrier
	flat_load_dword v5, v[30:31]
	flat_load_dword v7, v[32:33] offset:128
	v_and_b32_e32 v34, 32, v6
	v_cmp_eq_u32_e32 vcc, 0, v34
	s_waitcnt vmcnt(0) lgkmcnt(0)
	v_cvt_u32_f32_e32 v5, v5
	v_cvt_u32_f32_e32 v7, v7
	v_max_u32_e32 v35, v5, v7
	v_min_u32_e32 v5, v5, v7
	v_cndmask_b32_e32 v7, v35, v5, vcc
	v_cndmask_b32_e32 v5, v5, v35, vcc
	v_cvt_f32_u32_e32 v7, v7
	v_cvt_f32_u32_e32 v5, v5
	flat_store_dword v[30:31], v7
	flat_store_dword v[32:33], v5 offset:128
	s_waitcnt lgkmcnt(0)
	s_barrier
	flat_load_dword v5, v[26:27]
	flat_load_dword v7, v[28:29] offset:64
	s_waitcnt vmcnt(0) lgkmcnt(0)
	v_cvt_u32_f32_e32 v5, v5
	v_cvt_u32_f32_e32 v7, v7
	v_max_u32_e32 v34, v5, v7
	v_min_u32_e32 v5, v5, v7
	v_cndmask_b32_e32 v7, v34, v5, vcc
	v_cndmask_b32_e32 v5, v5, v34, vcc
	v_cvt_f32_u32_e32 v7, v7
	v_cvt_f32_u32_e32 v5, v5
	flat_store_dword v[26:27], v7
	flat_store_dword v[28:29], v5 offset:64
	s_waitcnt lgkmcnt(0)
	s_barrier
	flat_load_dword v5, v[22:23]
	flat_load_dword v7, v[24:25] offset:32
	;; [unrolled: 15-line block ×4, first 2 shown]
	s_waitcnt vmcnt(0) lgkmcnt(0)
	v_cvt_u32_f32_e32 v5, v5
	v_cvt_u32_f32_e32 v7, v7
	v_max_u32_e32 v34, v5, v7
	v_min_u32_e32 v5, v5, v7
	v_cndmask_b32_e32 v7, v34, v5, vcc
	v_cndmask_b32_e32 v5, v5, v34, vcc
	v_cvt_f32_u32_e32 v7, v7
	v_cvt_f32_u32_e32 v5, v5
	flat_store_dword v[12:13], v7
	flat_store_dword v[14:15], v5 offset:8
	s_waitcnt lgkmcnt(0)
	s_barrier
	flat_load_dwordx2 v[34:35], v[10:11]
	s_waitcnt vmcnt(0) lgkmcnt(0)
	v_cvt_u32_f32_e32 v5, v34
	v_cvt_u32_f32_e32 v7, v35
	v_and_b32_e32 v34, 63, v6
	v_sub_u32_e32 v36, v8, v34
	v_max_u32_e32 v34, v5, v7
	v_min_u32_e32 v5, v5, v7
	v_cndmask_b32_e32 v7, v34, v5, vcc
	v_cndmask_b32_e32 v5, v5, v34, vcc
	v_cvt_f32_u32_e32 v38, v7
	v_cvt_f32_u32_e32 v39, v5
	v_lshl_add_u64 v[34:35], v[36:37], 2, v[18:19]
	v_ashrrev_i32_e32 v37, 31, v36
	v_lshl_add_u64 v[36:37], v[36:37], 2, v[18:19]
	flat_store_dwordx2 v[10:11], v[38:39]
	s_waitcnt lgkmcnt(0)
	s_barrier
	flat_load_dword v5, v[34:35]
	flat_load_dword v7, v[36:37] offset:256
	v_and_b32_e32 v38, 64, v6
	v_cmp_eq_u32_e32 vcc, 0, v38
	s_waitcnt vmcnt(0) lgkmcnt(0)
	v_cvt_u32_f32_e32 v5, v5
	v_cvt_u32_f32_e32 v7, v7
	v_max_u32_e32 v39, v5, v7
	v_min_u32_e32 v5, v5, v7
	v_cndmask_b32_e32 v7, v39, v5, vcc
	v_cndmask_b32_e32 v5, v5, v39, vcc
	v_cvt_f32_u32_e32 v7, v7
	v_cvt_f32_u32_e32 v5, v5
	flat_store_dword v[34:35], v7
	flat_store_dword v[36:37], v5 offset:256
	s_waitcnt lgkmcnt(0)
	s_barrier
	flat_load_dword v5, v[30:31]
	flat_load_dword v7, v[32:33] offset:128
	s_waitcnt vmcnt(0) lgkmcnt(0)
	v_cvt_u32_f32_e32 v5, v5
	v_cvt_u32_f32_e32 v7, v7
	v_max_u32_e32 v38, v5, v7
	v_min_u32_e32 v5, v5, v7
	v_cndmask_b32_e32 v7, v38, v5, vcc
	v_cndmask_b32_e32 v5, v5, v38, vcc
	v_cvt_f32_u32_e32 v7, v7
	v_cvt_f32_u32_e32 v5, v5
	flat_store_dword v[30:31], v7
	flat_store_dword v[32:33], v5 offset:128
	s_waitcnt lgkmcnt(0)
	s_barrier
	flat_load_dword v5, v[26:27]
	flat_load_dword v7, v[28:29] offset:64
	;; [unrolled: 15-line block ×5, first 2 shown]
	s_waitcnt vmcnt(0) lgkmcnt(0)
	v_cvt_u32_f32_e32 v5, v5
	v_cvt_u32_f32_e32 v7, v7
	v_max_u32_e32 v38, v5, v7
	v_min_u32_e32 v5, v5, v7
	v_cndmask_b32_e32 v7, v38, v5, vcc
	v_cndmask_b32_e32 v5, v5, v38, vcc
	v_cvt_f32_u32_e32 v7, v7
	v_cvt_f32_u32_e32 v5, v5
	flat_store_dword v[12:13], v7
	flat_store_dword v[14:15], v5 offset:8
	s_waitcnt lgkmcnt(0)
	s_barrier
	flat_load_dwordx2 v[38:39], v[10:11]
	s_waitcnt vmcnt(0) lgkmcnt(0)
	v_cvt_u32_f32_e32 v5, v38
	v_cvt_u32_f32_e32 v7, v39
	v_and_b32_e32 v38, 0x7f, v6
	v_sub_u32_e32 v8, v8, v38
	v_lshl_add_u64 v[38:39], v[8:9], 2, v[18:19]
	v_max_u32_e32 v48, v5, v7
	v_min_u32_e32 v5, v5, v7
	v_cndmask_b32_e32 v7, v48, v5, vcc
	v_cndmask_b32_e32 v5, v5, v48, vcc
	v_cvt_f32_u32_e32 v48, v7
	v_cvt_f32_u32_e32 v49, v5
	v_ashrrev_i32_e32 v51, 31, v8
	v_mov_b32_e32 v50, v8
	v_lshl_add_u64 v[18:19], v[50:51], 2, v[18:19]
	flat_store_dwordx2 v[10:11], v[48:49]
	s_waitcnt lgkmcnt(0)
	s_barrier
	flat_load_dword v5, v[38:39]
	flat_load_dword v7, v[18:19] offset:512
	v_cmp_gt_u32_e32 vcc, s2, v6
	s_waitcnt vmcnt(0) lgkmcnt(0)
	v_cvt_u32_f32_e32 v5, v5
	v_cvt_u32_f32_e32 v7, v7
	v_min_u32_e32 v8, v5, v7
	v_max_u32_e32 v5, v5, v7
	v_cvt_f32_u32_e32 v7, v8
	v_cvt_f32_u32_e32 v5, v5
	flat_store_dword v[38:39], v7
	flat_store_dword v[18:19], v5 offset:512
	s_waitcnt lgkmcnt(0)
	s_barrier
	flat_load_dword v5, v[34:35]
	flat_load_dword v7, v[36:37] offset:256
	s_waitcnt vmcnt(0) lgkmcnt(0)
	v_cvt_u32_f32_e32 v5, v5
	v_cvt_u32_f32_e32 v7, v7
	v_min_u32_e32 v8, v5, v7
	v_max_u32_e32 v5, v5, v7
	v_cvt_f32_u32_e32 v7, v8
	v_cvt_f32_u32_e32 v5, v5
	flat_store_dword v[34:35], v7
	flat_store_dword v[36:37], v5 offset:256
	s_waitcnt lgkmcnt(0)
	s_barrier
	flat_load_dword v5, v[30:31]
	flat_load_dword v7, v[32:33] offset:128
	;; [unrolled: 13-line block ×6, first 2 shown]
	s_waitcnt vmcnt(0) lgkmcnt(0)
	v_cvt_u32_f32_e32 v5, v5
	v_cvt_u32_f32_e32 v7, v7
	v_min_u32_e32 v8, v5, v7
	v_max_u32_e32 v5, v5, v7
	v_cvt_f32_u32_e32 v7, v8
	v_cvt_f32_u32_e32 v5, v5
	flat_store_dword v[12:13], v7
	flat_store_dword v[14:15], v5 offset:8
	s_waitcnt lgkmcnt(0)
	s_barrier
	flat_load_dwordx2 v[12:13], v[10:11]
	s_waitcnt vmcnt(0) lgkmcnt(0)
	v_cvt_u32_f32_e32 v5, v12
	v_cvt_u32_f32_e32 v7, v13
	v_min_u32_e32 v8, v5, v7
	v_max_u32_e32 v5, v5, v7
	v_cvt_f32_u32_e32 v13, v5
	v_cvt_f32_u32_e32 v12, v8
	flat_store_dwordx2 v[10:11], v[12:13]
	s_waitcnt lgkmcnt(0)
	s_barrier
	s_and_saveexec_b64 s[2:3], vcc
	s_cbranch_execz .LBB4_21
; %bb.19:
	s_mov_b64 s[4:5], 0
.LBB4_20:                               ; =>This Inner Loop Header: Depth=1
	v_add_u32_e32 v8, v4, v6
	v_lshlrev_b64 v[10:11], 2, v[8:9]
	v_lshl_add_u64 v[12:13], v[0:1], 0, v[10:11]
	flat_load_dword v5, v[12:13]
	v_add_u32_e32 v7, 0x80, v6
	v_cmp_lt_u32_e32 vcc, s6, v6
	s_or_b64 s[4:5], vcc, s[4:5]
	v_mov_b32_e32 v6, v7
	v_lshl_add_u64 v[10:11], v[2:3], 0, v[10:11]
	s_waitcnt vmcnt(0) lgkmcnt(0)
	flat_store_dword v[10:11], v5
	s_andn2_b64 exec, exec, s[4:5]
	s_cbranch_execnz .LBB4_20
.LBB4_21:
	s_or_b64 exec, exec, s[2:3]
	s_or_b64 exec, exec, s[0:1]
	s_waitcnt vmcnt(0) lgkmcnt(0)
	s_setpc_b64 s[30:31]
.Lfunc_end4:
	.size	_Z14sort_thresholdIfEvPT_S1_jjS1_j, .Lfunc_end4-_Z14sort_thresholdIfEvPT_S1_jjS1_j
                                        ; -- End function
	.set .L_Z14sort_thresholdIfEvPT_S1_jjS1_j.num_vgpr, 52
	.set .L_Z14sort_thresholdIfEvPT_S1_jjS1_j.num_agpr, 0
	.set .L_Z14sort_thresholdIfEvPT_S1_jjS1_j.numbered_sgpr, 32
	.set .L_Z14sort_thresholdIfEvPT_S1_jjS1_j.num_named_barrier, 0
	.set .L_Z14sort_thresholdIfEvPT_S1_jjS1_j.private_seg_size, 0
	.set .L_Z14sort_thresholdIfEvPT_S1_jjS1_j.uses_vcc, 1
	.set .L_Z14sort_thresholdIfEvPT_S1_jjS1_j.uses_flat_scratch, 0
	.set .L_Z14sort_thresholdIfEvPT_S1_jjS1_j.has_dyn_sized_stack, 0
	.set .L_Z14sort_thresholdIfEvPT_S1_jjS1_j.has_recursion, 0
	.set .L_Z14sort_thresholdIfEvPT_S1_jjS1_j.has_indirect_call, 0
	.section	.AMDGPU.csdata,"",@progbits
; Function info:
; codeLenInByte = 5676
; TotalNumSgprs: 38
; NumVgprs: 52
; NumAgprs: 0
; TotalNumVgprs: 52
; ScratchSize: 0
; MemoryBound: 0
	.section	.text._Z13lqsort_kernelIfEvPT_S1_P11work_recordIS0_E,"axG",@progbits,_Z13lqsort_kernelIfEvPT_S1_P11work_recordIS0_E,comdat
	.protected	_Z13lqsort_kernelIfEvPT_S1_P11work_recordIS0_E ; -- Begin function _Z13lqsort_kernelIfEvPT_S1_P11work_recordIS0_E
	.globl	_Z13lqsort_kernelIfEvPT_S1_P11work_recordIS0_E
	.p2align	8
	.type	_Z13lqsort_kernelIfEvPT_S1_P11work_recordIS0_E,@function
_Z13lqsort_kernelIfEvPT_S1_P11work_recordIS0_E: ; @_Z13lqsort_kernelIfEvPT_S1_P11work_recordIS0_E
; %bb.0:
	s_mov_b64 s[12:13], s[0:1]
	s_load_dwordx2 s[0:1], s[0:1], 0x10
	s_mov_b32 s3, 0
	s_lshl_b64 s[2:3], s[2:3], 4
	s_load_dwordx4 s[36:39], s[12:13], 0x0
	v_mov_b32_e32 v40, v0
	s_waitcnt lgkmcnt(0)
	s_add_u32 s0, s0, s2
	s_addc_u32 s1, s1, s3
	v_mov_b32_e32 v0, 0
	global_load_dwordx2 v[2:3], v0, s[0:1]
	global_load_dword v4, v0, s[0:1] offset:12
	v_cmp_eq_u32_e64 s[14:15], 0, v40
	s_mov_b32 s32, 0
	s_waitcnt vmcnt(1)
	v_readfirstlane_b32 s34, v2
	s_nop 1
	v_subrev_u32_e32 v1, s34, v3
	s_and_saveexec_b64 s[0:1], s[14:15]
	s_cbranch_execz .LBB5_2
; %bb.1:
	v_mov_b32_e32 v2, 1
	ds_write_b32 v0, v0 offset:15364
	ds_write_b96 v0, v[0:2] offset:15904
.LBB5_2:
	s_or_b64 exec, exec, s[0:1]
	s_waitcnt vmcnt(0)
	v_cmp_eq_u32_e32 vcc, 1, v4
	v_cmp_lt_u32_e64 s[0:1], v40, v1
	s_mov_b64 s[2:3], -1
	s_cbranch_vccnz .LBB5_19
; %bb.3:
	s_and_saveexec_b64 s[2:3], s[0:1]
	s_cbranch_execz .LBB5_18
; %bb.4:
	v_xad_u32 v0, v40, -1, v3
	v_subrev_u32_e32 v2, s34, v0
	s_movk_i32 s4, 0xb80
	s_movk_i32 s6, 0xb7f
	v_cmp_gt_u32_e64 s[4:5], s4, v2
	v_cmp_lt_u32_e32 vcc, s6, v2
	v_mov_b32_e32 v0, v40
	s_and_saveexec_b64 s[6:7], vcc
	s_cbranch_execz .LBB5_15
; %bb.5:
	v_sub_u32_e32 v4, v40, v3
	v_add_u32_e32 v4, s34, v4
	v_add_u32_e32 v0, s34, v40
	v_or_b32_e32 v4, 0x7f, v4
	v_cmp_ge_u32_e32 vcc, v4, v0
	s_mov_b64 s[10:11], -1
	v_mov_b32_e32 v0, v40
	s_and_saveexec_b64 s[8:9], vcc
	s_cbranch_execz .LBB5_14
; %bb.6:
	v_lshrrev_b32_e32 v0, 7, v2
	v_add_u32_e32 v4, -1, v0
	v_add_u32_e32 v41, 0x80, v40
	v_lshrrev_b32_e32 v2, 1, v4
	v_add_u32_e32 v2, 1, v2
	v_cmp_lt_u32_e32 vcc, 13, v4
	v_mov_b32_e32 v6, 0
	v_mov_b64_e32 v[4:5], v[40:41]
	s_and_saveexec_b64 s[10:11], vcc
	s_cbranch_execz .LBB5_10
; %bb.7:
	s_add_i32 s18, s34, 0x100
	s_add_i32 s20, s34, 0x200
	s_add_i32 s22, s34, 0x300
	s_add_i32 s24, s34, 0x400
	s_add_i32 s26, s34, 0x500
	s_add_i32 s28, s34, 0x600
	s_add_i32 s30, s34, 0x700
	v_and_b32_e32 v8, -8, v2
	s_mov_b32 s19, s18
	s_mov_b32 s21, s20
	;; [unrolled: 1-line block ×7, first 2 shown]
	v_lshlrev_b32_e32 v9, 2, v40
	s_mov_b32 s33, 0
	s_mov_b64 s[16:17], 0
	v_mov_b32_e32 v7, 0
	v_mov_b64_e32 v[4:5], v[40:41]
.LBB5_8:                                ; =>This Inner Loop Header: Depth=1
	v_add_u32_e32 v6, s34, v4
	v_add_u32_e32 v10, s34, v5
	v_mov_b32_e32 v11, v7
	v_lshl_add_u64 v[26:27], v[6:7], 2, s[38:39]
	v_add_u32_e32 v6, s18, v4
	v_add_u32_e32 v12, s19, v5
	v_mov_b32_e32 v13, v7
	v_lshl_add_u64 v[10:11], v[10:11], 2, s[38:39]
	v_lshl_add_u64 v[28:29], v[6:7], 2, s[38:39]
	v_add_u32_e32 v6, s20, v4
	v_lshl_add_u64 v[12:13], v[12:13], 2, s[38:39]
	global_load_dword v30, v[26:27], off
	global_load_dword v31, v[10:11], off
	;; [unrolled: 1-line block ×4, first 2 shown]
	v_lshl_add_u64 v[10:11], v[6:7], 2, s[38:39]
	v_add_u32_e32 v6, s22, v4
	v_add_u32_e32 v14, s21, v5
	v_mov_b32_e32 v15, v7
	v_add_u32_e32 v16, s23, v5
	v_mov_b32_e32 v17, v7
	v_lshl_add_u64 v[12:13], v[6:7], 2, s[38:39]
	v_add_u32_e32 v6, s24, v4
	v_lshl_add_u64 v[14:15], v[14:15], 2, s[38:39]
	v_lshl_add_u64 v[16:17], v[16:17], 2, s[38:39]
	global_load_dword v26, v[10:11], off
	global_load_dword v27, v[14:15], off
	;; [unrolled: 1-line block ×4, first 2 shown]
	v_lshl_add_u64 v[10:11], v[6:7], 2, s[38:39]
	v_add_u32_e32 v6, s26, v4
	v_add_u32_e32 v18, s25, v5
	v_mov_b32_e32 v19, v7
	v_add_u32_e32 v20, s27, v5
	v_mov_b32_e32 v21, v7
	v_lshl_add_u64 v[12:13], v[6:7], 2, s[38:39]
	v_add_u32_e32 v6, s28, v4
	v_add_u32_e32 v22, s29, v5
	v_mov_b32_e32 v23, v7
	v_add_u32_e32 v24, s31, v5
	v_mov_b32_e32 v25, v7
	v_lshl_add_u64 v[18:19], v[18:19], 2, s[38:39]
	v_lshl_add_u64 v[20:21], v[20:21], 2, s[38:39]
	global_load_dword v14, v[10:11], off
	global_load_dword v15, v[18:19], off
	;; [unrolled: 1-line block ×4, first 2 shown]
	v_lshl_add_u64 v[10:11], v[6:7], 2, s[38:39]
	v_add_u32_e32 v6, s30, v4
	v_lshl_add_u64 v[22:23], v[22:23], 2, s[38:39]
	v_lshl_add_u64 v[24:25], v[24:25], 2, s[38:39]
	;; [unrolled: 1-line block ×3, first 2 shown]
	global_load_dword v18, v[10:11], off
	global_load_dword v19, v[22:23], off
	global_load_dword v20, v[12:13], off
	global_load_dword v21, v[24:25], off
	v_add_u32_e32 v8, -8, v8
	s_add_i32 s33, s33, 16
	v_cmp_eq_u32_e32 vcc, 0, v8
	v_add_u32_e32 v5, 0x800, v5
	v_mov_b32_e32 v6, s33
	s_or_b64 s[16:17], vcc, s[16:17]
	v_add_u32_e32 v4, 0x800, v4
	s_waitcnt vmcnt(14)
	ds_write2st64_b32 v9, v30, v31 offset1:2
	s_waitcnt vmcnt(12)
	ds_write2st64_b32 v9, v32, v33 offset0:4 offset1:6
	s_waitcnt vmcnt(10)
	ds_write2st64_b32 v9, v26, v27 offset0:8 offset1:10
	;; [unrolled: 2-line block ×7, first 2 shown]
	v_add_u32_e32 v9, 0x2000, v9
	s_andn2_b64 exec, exec, s[16:17]
	s_cbranch_execnz .LBB5_8
; %bb.9:
	s_or_b64 exec, exec, s[16:17]
.LBB5_10:
	s_or_b64 exec, exec, s[10:11]
	v_and_b32_e32 v2, 7, v2
	v_cmp_ne_u32_e32 vcc, 0, v2
	s_and_saveexec_b64 s[10:11], vcc
	s_cbranch_execz .LBB5_13
; %bb.11:
	v_lshlrev_b32_e32 v7, 2, v40
	v_lshl_add_u32 v8, v6, 9, v7
	s_mov_b64 s[16:17], 0
	v_mov_b32_e32 v7, 0
.LBB5_12:                               ; =>This Inner Loop Header: Depth=1
	v_add_u32_e32 v6, s34, v4
	v_add_u32_e32 v10, s34, v5
	v_mov_b32_e32 v11, v7
	v_lshl_add_u64 v[12:13], v[6:7], 2, s[38:39]
	v_lshl_add_u64 v[10:11], v[10:11], 2, s[38:39]
	global_load_dword v6, v[12:13], off
	global_load_dword v9, v[10:11], off
	v_add_u32_e32 v2, -1, v2
	v_cmp_eq_u32_e32 vcc, 0, v2
	v_add_u32_e32 v5, 0x100, v5
	v_add_u32_e32 v4, 0x100, v4
	s_or_b64 s[16:17], vcc, s[16:17]
	s_waitcnt vmcnt(0)
	ds_write2st64_b32 v8, v6, v9 offset1:2
	v_add_u32_e32 v8, 0x400, v8
	s_andn2_b64 exec, exec, s[16:17]
	s_cbranch_execnz .LBB5_12
.LBB5_13:
	s_or_b64 exec, exec, s[10:11]
	v_add_u32_e32 v2, 1, v0
	v_and_b32_e32 v4, 0x3fffffe, v2
	v_cmp_ne_u32_e32 vcc, v2, v4
	v_lshl_add_u32 v0, v4, 7, v40
	s_orn2_b64 s[10:11], vcc, exec
.LBB5_14:
	s_or_b64 exec, exec, s[8:9]
	s_andn2_b64 s[4:5], s[4:5], exec
	s_and_b64 s[8:9], s[10:11], exec
	s_or_b64 s[4:5], s[4:5], s[8:9]
.LBB5_15:
	s_or_b64 exec, exec, s[6:7]
	s_and_b64 exec, exec, s[4:5]
	s_cbranch_execz .LBB5_18
; %bb.16:
	v_lshlrev_b32_e32 v2, 2, v0
	s_mov_b64 s[4:5], 0
	v_mov_b32_e32 v5, 0
.LBB5_17:                               ; =>This Inner Loop Header: Depth=1
	v_add_u32_e32 v4, s34, v0
	v_lshl_add_u64 v[6:7], v[4:5], 2, s[38:39]
	global_load_dword v4, v[6:7], off
	v_add_u32_e32 v0, 0x80, v0
	v_cmp_ge_u32_e32 vcc, v0, v1
	s_or_b64 s[4:5], vcc, s[4:5]
	s_waitcnt vmcnt(0)
	ds_write_b32 v2, v4
	v_add_u32_e32 v2, 0x200, v2
	s_andn2_b64 exec, exec, s[4:5]
	s_cbranch_execnz .LBB5_17
.LBB5_18:
	s_or_b64 exec, exec, s[2:3]
	s_mov_b64 s[2:3], 0
.LBB5_19:
	s_andn2_b64 vcc, exec, s[2:3]
	s_cbranch_vccnz .LBB5_36
; %bb.20:
	s_and_saveexec_b64 s[2:3], s[0:1]
	s_cbranch_execz .LBB5_35
; %bb.21:
	v_xad_u32 v0, v40, -1, v3
	v_subrev_u32_e32 v2, s34, v0
	s_movk_i32 s0, 0xb80
	s_movk_i32 s4, 0xb7f
	v_cmp_gt_u32_e64 s[0:1], s0, v2
	v_cmp_lt_u32_e32 vcc, s4, v2
	v_mov_b32_e32 v0, v40
	s_and_saveexec_b64 s[4:5], vcc
	s_cbranch_execz .LBB5_32
; %bb.22:
	v_sub_u32_e32 v3, v40, v3
	v_add_u32_e32 v3, s34, v3
	v_add_u32_e32 v0, s34, v40
	v_or_b32_e32 v3, 0x7f, v3
	v_cmp_ge_u32_e32 vcc, v3, v0
	s_mov_b64 s[8:9], -1
	v_mov_b32_e32 v0, v40
	s_and_saveexec_b64 s[6:7], vcc
	s_cbranch_execz .LBB5_31
; %bb.23:
	v_lshrrev_b32_e32 v0, 7, v2
	v_add_u32_e32 v2, -1, v0
	v_add_u32_e32 v41, 0x80, v40
	v_lshrrev_b32_e32 v3, 1, v2
	v_add_u32_e32 v6, 1, v3
	v_cmp_lt_u32_e32 vcc, 13, v2
	v_mov_b32_e32 v4, 0
	v_mov_b64_e32 v[2:3], v[40:41]
	s_and_saveexec_b64 s[8:9], vcc
	s_cbranch_execz .LBB5_27
; %bb.24:
	s_add_i32 s16, s34, 0x100
	s_add_i32 s18, s34, 0x200
	;; [unrolled: 1-line block ×7, first 2 shown]
	v_and_b32_e32 v7, -8, v6
	s_mov_b32 s17, s16
	s_mov_b32 s19, s18
	;; [unrolled: 1-line block ×7, first 2 shown]
	v_lshlrev_b32_e32 v8, 2, v40
	s_mov_b32 s30, 0
	s_mov_b64 s[10:11], 0
	v_mov_b32_e32 v5, 0
	v_mov_b64_e32 v[2:3], v[40:41]
.LBB5_25:                               ; =>This Inner Loop Header: Depth=1
	v_add_u32_e32 v4, s34, v2
	v_add_u32_e32 v10, s34, v3
	v_mov_b32_e32 v11, v5
	v_lshl_add_u64 v[26:27], v[4:5], 2, s[36:37]
	v_add_u32_e32 v4, s16, v2
	v_add_u32_e32 v12, s17, v3
	v_mov_b32_e32 v13, v5
	v_lshl_add_u64 v[10:11], v[10:11], 2, s[36:37]
	v_lshl_add_u64 v[28:29], v[4:5], 2, s[36:37]
	v_add_u32_e32 v4, s18, v2
	v_lshl_add_u64 v[12:13], v[12:13], 2, s[36:37]
	global_load_dword v9, v[26:27], off
	global_load_dword v30, v[10:11], off
	;; [unrolled: 1-line block ×4, first 2 shown]
	v_lshl_add_u64 v[10:11], v[4:5], 2, s[36:37]
	v_add_u32_e32 v4, s20, v2
	v_add_u32_e32 v14, s19, v3
	v_mov_b32_e32 v15, v5
	v_add_u32_e32 v16, s21, v3
	v_mov_b32_e32 v17, v5
	v_lshl_add_u64 v[12:13], v[4:5], 2, s[36:37]
	v_add_u32_e32 v4, s22, v2
	v_lshl_add_u64 v[14:15], v[14:15], 2, s[36:37]
	v_lshl_add_u64 v[16:17], v[16:17], 2, s[36:37]
	global_load_dword v26, v[10:11], off
	global_load_dword v27, v[14:15], off
	;; [unrolled: 1-line block ×4, first 2 shown]
	v_lshl_add_u64 v[10:11], v[4:5], 2, s[36:37]
	v_add_u32_e32 v4, s24, v2
	v_add_u32_e32 v18, s23, v3
	v_mov_b32_e32 v19, v5
	v_add_u32_e32 v20, s25, v3
	v_mov_b32_e32 v21, v5
	v_lshl_add_u64 v[12:13], v[4:5], 2, s[36:37]
	v_add_u32_e32 v4, s26, v2
	v_add_u32_e32 v22, s27, v3
	v_mov_b32_e32 v23, v5
	v_add_u32_e32 v24, s29, v3
	v_mov_b32_e32 v25, v5
	v_lshl_add_u64 v[18:19], v[18:19], 2, s[36:37]
	v_lshl_add_u64 v[20:21], v[20:21], 2, s[36:37]
	global_load_dword v14, v[10:11], off
	global_load_dword v15, v[18:19], off
	;; [unrolled: 1-line block ×4, first 2 shown]
	v_lshl_add_u64 v[10:11], v[4:5], 2, s[36:37]
	v_add_u32_e32 v4, s28, v2
	v_lshl_add_u64 v[22:23], v[22:23], 2, s[36:37]
	v_lshl_add_u64 v[24:25], v[24:25], 2, s[36:37]
	;; [unrolled: 1-line block ×3, first 2 shown]
	global_load_dword v18, v[10:11], off
	global_load_dword v19, v[22:23], off
	;; [unrolled: 1-line block ×4, first 2 shown]
	v_add_u32_e32 v7, -8, v7
	s_add_i32 s30, s30, 16
	v_cmp_eq_u32_e32 vcc, 0, v7
	v_add_u32_e32 v3, 0x800, v3
	v_mov_b32_e32 v4, s30
	s_or_b64 s[10:11], vcc, s[10:11]
	v_add_u32_e32 v2, 0x800, v2
	s_waitcnt vmcnt(14)
	ds_write2st64_b32 v8, v9, v30 offset1:2
	s_waitcnt vmcnt(12)
	ds_write2st64_b32 v8, v31, v32 offset0:4 offset1:6
	s_waitcnt vmcnt(10)
	ds_write2st64_b32 v8, v26, v27 offset0:8 offset1:10
	s_waitcnt vmcnt(8)
	ds_write2st64_b32 v8, v28, v29 offset0:12 offset1:14
	s_waitcnt vmcnt(6)
	ds_write2st64_b32 v8, v14, v15 offset0:16 offset1:18
	s_waitcnt vmcnt(4)
	ds_write2st64_b32 v8, v16, v17 offset0:20 offset1:22
	s_waitcnt vmcnt(2)
	ds_write2st64_b32 v8, v18, v19 offset0:24 offset1:26
	s_waitcnt vmcnt(0)
	ds_write2st64_b32 v8, v20, v21 offset0:28 offset1:30
	v_add_u32_e32 v8, 0x2000, v8
	s_andn2_b64 exec, exec, s[10:11]
	s_cbranch_execnz .LBB5_25
; %bb.26:
	s_or_b64 exec, exec, s[10:11]
.LBB5_27:
	s_or_b64 exec, exec, s[8:9]
	v_and_b32_e32 v6, 7, v6
	v_cmp_ne_u32_e32 vcc, 0, v6
	s_and_saveexec_b64 s[8:9], vcc
	s_cbranch_execz .LBB5_30
; %bb.28:
	v_lshlrev_b32_e32 v5, 2, v40
	v_lshl_add_u32 v7, v4, 9, v5
	s_mov_b64 s[10:11], 0
	v_mov_b32_e32 v5, 0
.LBB5_29:                               ; =>This Inner Loop Header: Depth=1
	v_add_u32_e32 v4, s34, v2
	v_add_u32_e32 v8, s34, v3
	v_mov_b32_e32 v9, v5
	v_lshl_add_u64 v[10:11], v[4:5], 2, s[36:37]
	v_lshl_add_u64 v[8:9], v[8:9], 2, s[36:37]
	global_load_dword v4, v[10:11], off
	global_load_dword v12, v[8:9], off
	v_add_u32_e32 v6, -1, v6
	v_cmp_eq_u32_e32 vcc, 0, v6
	v_add_u32_e32 v3, 0x100, v3
	v_add_u32_e32 v2, 0x100, v2
	s_or_b64 s[10:11], vcc, s[10:11]
	s_waitcnt vmcnt(0)
	ds_write2st64_b32 v7, v4, v12 offset1:2
	v_add_u32_e32 v7, 0x400, v7
	s_andn2_b64 exec, exec, s[10:11]
	s_cbranch_execnz .LBB5_29
.LBB5_30:
	s_or_b64 exec, exec, s[8:9]
	v_add_u32_e32 v2, 1, v0
	v_and_b32_e32 v3, 0x3fffffe, v2
	v_cmp_ne_u32_e32 vcc, v2, v3
	v_lshl_add_u32 v0, v3, 7, v40
	s_orn2_b64 s[8:9], vcc, exec
.LBB5_31:
	s_or_b64 exec, exec, s[6:7]
	s_andn2_b64 s[0:1], s[0:1], exec
	s_and_b64 s[6:7], s[8:9], exec
	s_or_b64 s[0:1], s[0:1], s[6:7]
.LBB5_32:
	s_or_b64 exec, exec, s[4:5]
	s_and_b64 exec, exec, s[0:1]
	s_cbranch_execz .LBB5_35
; %bb.33:
	v_lshlrev_b32_e32 v4, 2, v0
	s_mov_b64 s[0:1], 0
	v_mov_b32_e32 v3, 0
.LBB5_34:                               ; =>This Inner Loop Header: Depth=1
	v_add_u32_e32 v2, s34, v0
	v_lshl_add_u64 v[6:7], v[2:3], 2, s[36:37]
	global_load_dword v2, v[6:7], off
	v_add_u32_e32 v0, 0x80, v0
	v_cmp_ge_u32_e32 vcc, v0, v1
	s_or_b64 s[0:1], vcc, s[0:1]
	s_waitcnt vmcnt(0)
	ds_write_b32 v4, v2
	v_add_u32_e32 v4, 0x200, v4
	s_andn2_b64 exec, exec, s[0:1]
	s_cbranch_execnz .LBB5_34
.LBB5_35:
	s_or_b64 exec, exec, s[2:3]
.LBB5_36:
	v_mov_b32_e32 v45, 0
	s_waitcnt lgkmcnt(0)
	s_barrier
	ds_read_b32 v0, v45 offset:15364
	s_mov_b32 s35, 0
	s_waitcnt lgkmcnt(0)
	v_cmp_gt_i32_e32 vcc, 0, v0
	s_cbranch_vccnz .LBB5_114
; %bb.37:
	v_and_b32_e32 v2, 1, v40
	v_cmp_eq_u32_e64 s[16:17], 1, v2
	v_and_b32_e32 v2, 3, v40
	v_cmp_eq_u32_e64 s[18:19], 3, v2
	;; [unrolled: 2-line block ×3, first 2 shown]
	v_and_b32_e32 v2, 15, v40
	s_lshl_b64 s[0:1], s[34:35], 2
	v_cmp_eq_u32_e64 s[22:23], 15, v2
	v_and_b32_e32 v2, 31, v40
	s_add_u32 s33, s36, s0
	s_movk_i32 s0, 0x3c00
	v_cmp_eq_u32_e64 s[24:25], 31, v2
	v_and_b32_e32 v2, 63, v40
	s_mov_b64 s[38:39], src_shared_base
	v_lshlrev_b32_e32 v1, 2, v40
	s_addc_u32 s35, s37, s1
	v_cmp_eq_u32_e64 s[26:27], 63, v2
	s_movk_i32 s1, 0x7f
	v_and_b32_e32 v2, 0x7f, v40
	v_add_u32_e64 v68, s0, 0
	s_movk_i32 s0, 0x3800
	v_add_u32_e32 v41, 0x3a00, v1
	v_add_u32_e32 v46, 0x3c10, v1
	;; [unrolled: 1-line block ×14, first 2 shown]
	v_cmp_eq_u32_e64 s[28:29], s1, v2
	v_add_u32_e32 v63, 0x3b10, v1
	v_add_u32_e32 v64, 0x3900, v1
	;; [unrolled: 1-line block ×3, first 2 shown]
	v_not_b32_e32 v66, v40
	s_mov_b32 s38, s34
	v_mov_b32_e32 v67, 0x1b00
	s_movk_i32 s40, 0x780
	s_movk_i32 s41, 0x77f
	;; [unrolled: 1-line block ×5, first 2 shown]
	v_add_u32_e64 v69, s0, 0
	s_branch .LBB5_39
.LBB5_38:                               ;   in Loop: Header=BB5_39 Depth=1
	ds_read_b32 v0, v45 offset:15364
	s_waitcnt lgkmcnt(0)
	v_cmp_lt_i32_e32 vcc, -1, v0
	s_cbranch_vccz .LBB5_114
.LBB5_39:                               ; =>This Loop Header: Depth=1
                                        ;     Child Loop BB5_47 Depth 2
                                        ;     Child Loop BB5_52 Depth 2
	;; [unrolled: 1-line block ×5, first 2 shown]
	v_mul_lo_u32 v0, v0, 12
	v_add_u32_e32 v1, 0x3e20, v0
	ds_read2_b32 v[42:43], v1 offset1:1
	ds_read_b32 v70, v0 offset:15912
	s_waitcnt lgkmcnt(0)
	s_barrier
	s_and_saveexec_b64 s[0:1], s[14:15]
	s_cbranch_execz .LBB5_41
; %bb.40:                               ;   in Loop: Header=BB5_39 Depth=1
	ds_read_b32 v0, v45 offset:15364
	s_waitcnt lgkmcnt(0)
	v_add_u32_e32 v0, -1, v0
	ds_write2_b32 v68, v0, v45 offset0:1 offset1:133
	ds_write_b32 v45, v45 offset:15976
.LBB5_41:                               ;   in Loop: Header=BB5_39 Depth=1
	s_or_b64 exec, exec, s[0:1]
	v_cmp_eq_u32_e32 vcc, 1, v70
	v_mov_b32_e32 v1, s39
	v_mov_b32_e32 v3, s39
	v_cndmask_b32_e64 v0, v67, 0, vcc
	v_cndmask_b32_e32 v2, 0, v67, vcc
	ds_write2_b64 v69, v[0:1], v[2:3] offset0:129 offset1:195
	ds_write_b32 v41, v45
	ds_write_b32 v46, v45
	s_waitcnt lgkmcnt(0)
	s_barrier
	ds_read_b64 v[0:1], v45 offset:15368
	v_mov_b32_e32 v44, v42
	v_lshlrev_b64 v[2:3], 2, v[44:45]
	v_cmp_ge_u32_e32 vcc, v42, v43
	s_and_b64 vcc, exec, vcc
	s_waitcnt lgkmcnt(0)
	v_lshl_add_u64 v[2:3], v[0:1], 0, v[2:3]
	flat_load_dword v2, v[2:3]
	s_waitcnt vmcnt(0) lgkmcnt(0)
	v_cvt_u32_f32_e32 v4, v2
	s_cbranch_vccnz .LBB5_43
; %bb.42:                               ;   in Loop: Header=BB5_39 Depth=1
	v_add_u32_e32 v2, v43, v42
	v_lshrrev_b32_e32 v44, 1, v2
	v_lshlrev_b64 v[2:3], 2, v[44:45]
	v_lshl_add_u64 v[2:3], v[0:1], 0, v[2:3]
	v_add_u32_e32 v44, -1, v43
	flat_load_dword v5, v[2:3]
	v_lshlrev_b64 v[2:3], 2, v[44:45]
	v_lshl_add_u64 v[2:3], v[0:1], 0, v[2:3]
	flat_load_dword v2, v[2:3]
	s_waitcnt vmcnt(0) lgkmcnt(0)
	v_cvt_u32_f32_e32 v3, v5
	v_cvt_u32_f32_e32 v2, v2
	v_max_u32_e32 v5, v4, v3
	v_min_u32_e32 v3, v4, v3
	v_max_u32_e32 v3, v3, v2
	v_cmp_lt_u32_e32 vcc, v5, v2
	s_nop 1
	v_cndmask_b32_e32 v4, v3, v5, vcc
.LBB5_43:                               ;   in Loop: Header=BB5_39 Depth=1
	v_add_u32_e32 v6, v42, v40
	v_cmp_lt_u32_e32 vcc, v6, v43
	v_mov_b32_e32 v2, 0
	v_mov_b32_e32 v3, 0
	s_and_saveexec_b64 s[2:3], vcc
	s_cbranch_execz .LBB5_55
; %bb.44:                               ;   in Loop: Header=BB5_39 Depth=1
	v_add_u32_e32 v2, v65, v42
	v_max_u32_e32 v7, v43, v2
	v_add_u32_e32 v2, v7, v66
	v_sub_u32_e32 v5, v2, v42
	v_cmp_gt_u32_e64 s[4:5], s40, v5
	v_cmp_lt_u32_e64 s[0:1], s41, v5
	v_mov_b32_e32 v2, 0
	v_mov_b32_e32 v3, 0
	;; [unrolled: 1-line block ×3, first 2 shown]
	s_and_saveexec_b64 s[6:7], s[0:1]
	s_cbranch_execz .LBB5_50
; %bb.45:                               ;   in Loop: Header=BB5_39 Depth=1
	v_sub_u32_e32 v2, v40, v7
	v_add_u32_e32 v2, v2, v42
	v_or_b32_e32 v2, 0x7f, v2
	v_cmp_ge_u32_e64 s[0:1], v2, v6
	s_mov_b64 s[10:11], -1
	v_mov_b32_e32 v2, 0
	v_mov_b32_e32 v3, 0
	;; [unrolled: 1-line block ×3, first 2 shown]
	s_and_saveexec_b64 s[8:9], s[0:1]
	s_cbranch_execz .LBB5_49
; %bb.46:                               ;   in Loop: Header=BB5_39 Depth=1
	v_lshrrev_b32_e32 v2, 7, v5
	v_add_u32_e32 v5, 1, v2
	v_and_b32_e32 v10, 0x3fffffe, v5
	v_add_u32_e32 v7, 0x80, v6
	v_mov_b32_e32 v3, v4
	v_mov_b32_e32 v2, 0
	s_mov_b64 s[10:11], 0
	v_mov_b32_e32 v12, v10
	v_mov_b64_e32 v[8:9], v[6:7]
	v_mov_b32_e32 v7, 0
	v_mov_b32_e32 v11, 0
	;; [unrolled: 1-line block ×3, first 2 shown]
.LBB5_47:                               ;   Parent Loop BB5_39 Depth=1
                                        ; =>  This Inner Loop Header: Depth=2
	v_mov_b32_e32 v44, v8
	v_lshl_add_u64 v[14:15], v[44:45], 2, v[0:1]
	flat_load_dword v16, v[14:15]
	v_mov_b32_e32 v44, v9
	v_lshl_add_u64 v[14:15], v[44:45], 2, v[0:1]
	flat_load_dword v14, v[14:15]
	v_add_u32_e32 v12, -2, v12
	v_cmp_eq_u32_e64 s[0:1], 0, v12
	s_or_b64 s[10:11], s[0:1], s[10:11]
	v_add_u32_e32 v8, 0x100, v8
	v_add_u32_e32 v9, 0x100, v9
	s_waitcnt vmcnt(0) lgkmcnt(0)
	v_cvt_u32_f32_e32 v15, v16
	v_cvt_u32_f32_e32 v14, v14
	v_cmp_gt_u32_e64 s[0:1], v4, v15
	s_nop 1
	v_addc_co_u32_e64 v2, s[0:1], 0, v2, s[0:1]
	v_cmp_lt_u32_e64 s[0:1], v4, v15
	s_nop 1
	v_addc_co_u32_e64 v11, s[0:1], 0, v11, s[0:1]
	v_cmp_gt_u32_e64 s[0:1], v3, v14
	s_nop 1
	v_addc_co_u32_e64 v7, s[0:1], 0, v7, s[0:1]
	v_cmp_lt_u32_e64 s[0:1], v3, v14
	s_nop 1
	v_addc_co_u32_e64 v13, s[0:1], 0, v13, s[0:1]
	s_andn2_b64 exec, exec, s[10:11]
	s_cbranch_execnz .LBB5_47
; %bb.48:                               ;   in Loop: Header=BB5_39 Depth=1
	s_or_b64 exec, exec, s[10:11]
	v_cmp_ne_u32_e64 s[0:1], v5, v10
	v_lshl_add_u32 v44, v10, 7, v6
	v_add_u32_e32 v3, v2, v7
	v_add_u32_e32 v2, v11, v13
	s_orn2_b64 s[10:11], s[0:1], exec
.LBB5_49:                               ;   in Loop: Header=BB5_39 Depth=1
	s_or_b64 exec, exec, s[8:9]
	s_andn2_b64 s[0:1], s[4:5], exec
	s_and_b64 s[4:5], s[10:11], exec
	s_or_b64 s[4:5], s[0:1], s[4:5]
.LBB5_50:                               ;   in Loop: Header=BB5_39 Depth=1
	s_or_b64 exec, exec, s[6:7]
	s_and_saveexec_b64 s[6:7], s[4:5]
	s_cbranch_execz .LBB5_54
; %bb.51:                               ;   in Loop: Header=BB5_39 Depth=1
	s_mov_b64 s[4:5], 0
.LBB5_52:                               ;   Parent Loop BB5_39 Depth=1
                                        ; =>  This Inner Loop Header: Depth=2
	v_lshl_add_u64 v[8:9], v[44:45], 2, v[0:1]
	flat_load_dword v5, v[8:9]
	v_add_u32_e32 v44, 0x80, v44
	v_cmp_ge_u32_e64 s[0:1], v44, v43
	s_or_b64 s[4:5], s[0:1], s[4:5]
	s_waitcnt vmcnt(0) lgkmcnt(0)
	v_cvt_u32_f32_e32 v5, v5
	v_cmp_gt_u32_e64 s[0:1], v4, v5
	s_nop 1
	v_addc_co_u32_e64 v3, s[0:1], 0, v3, s[0:1]
	v_cmp_lt_u32_e64 s[0:1], v4, v5
	s_nop 1
	v_addc_co_u32_e64 v2, s[0:1], 0, v2, s[0:1]
	s_andn2_b64 exec, exec, s[4:5]
	s_cbranch_execnz .LBB5_52
; %bb.53:                               ;   in Loop: Header=BB5_39 Depth=1
	s_or_b64 exec, exec, s[4:5]
.LBB5_54:                               ;   in Loop: Header=BB5_39 Depth=1
	s_or_b64 exec, exec, s[6:7]
.LBB5_55:                               ;   in Loop: Header=BB5_39 Depth=1
	s_or_b64 exec, exec, s[2:3]
	ds_write_b32 v46, v3
	ds_write_b32 v41, v2
	s_waitcnt lgkmcnt(0)
	s_barrier
	s_and_saveexec_b64 s[0:1], s[16:17]
	s_cbranch_execz .LBB5_57
; %bb.56:                               ;   in Loop: Header=BB5_39 Depth=1
	ds_read2_b32 v[0:1], v47 offset1:1
	ds_read2_b32 v[2:3], v52 offset1:1
	s_waitcnt lgkmcnt(1)
	v_add_u32_e32 v0, v1, v0
	s_waitcnt lgkmcnt(0)
	v_add_u32_e32 v1, v3, v2
	ds_write_b32 v46, v0
	ds_write_b32 v41, v1
.LBB5_57:                               ;   in Loop: Header=BB5_39 Depth=1
	s_or_b64 exec, exec, s[0:1]
	s_waitcnt lgkmcnt(0)
	s_barrier
	s_and_saveexec_b64 s[0:1], s[18:19]
	s_cbranch_execz .LBB5_59
; %bb.58:                               ;   in Loop: Header=BB5_39 Depth=1
	ds_read_b32 v0, v53
	ds_read_b32 v1, v54
	ds_read_b32 v2, v46
	ds_read_b32 v3, v41
	s_waitcnt lgkmcnt(1)
	v_add_u32_e32 v0, v2, v0
	s_waitcnt lgkmcnt(0)
	v_add_u32_e32 v1, v3, v1
	ds_write_b32 v46, v0
	ds_write_b32 v41, v1
.LBB5_59:                               ;   in Loop: Header=BB5_39 Depth=1
	s_or_b64 exec, exec, s[0:1]
	s_waitcnt lgkmcnt(0)
	s_barrier
	s_and_saveexec_b64 s[0:1], s[20:21]
	s_cbranch_execz .LBB5_61
; %bb.60:                               ;   in Loop: Header=BB5_39 Depth=1
	ds_read_b32 v0, v55
	ds_read_b32 v1, v56
	ds_read_b32 v2, v46
	ds_read_b32 v3, v41
	s_waitcnt lgkmcnt(1)
	v_add_u32_e32 v0, v2, v0
	s_waitcnt lgkmcnt(0)
	v_add_u32_e32 v1, v3, v1
	ds_write_b32 v46, v0
	ds_write_b32 v41, v1
.LBB5_61:                               ;   in Loop: Header=BB5_39 Depth=1
	;; [unrolled: 17-line block ×6, first 2 shown]
	s_or_b64 exec, exec, s[0:1]
	s_waitcnt lgkmcnt(0)
	s_barrier
	s_and_saveexec_b64 s[0:1], s[28:29]
	s_cbranch_execz .LBB5_71
; %bb.70:                               ;   in Loop: Header=BB5_39 Depth=1
	ds_read_b32 v0, v46
	ds_read_b32 v1, v41
	s_waitcnt lgkmcnt(1)
	ds_write_b32 v45, v0 offset:15976
	s_waitcnt lgkmcnt(1)
	ds_write_b64 v45, v[0:1] offset:15888
	ds_write_b32 v45, v1 offset:15360
	ds_write_b32 v46, v45
	ds_write_b32 v41, v45
.LBB5_71:                               ;   in Loop: Header=BB5_39 Depth=1
	s_or_b64 exec, exec, s[0:1]
	s_and_saveexec_b64 s[0:1], s[28:29]
	s_cbranch_execz .LBB5_73
; %bb.72:                               ;   in Loop: Header=BB5_39 Depth=1
	ds_read_b32 v0, v64
	ds_read_b32 v1, v46
	ds_read_b32 v2, v63
	ds_read_b32 v3, v41
	s_waitcnt lgkmcnt(2)
	ds_write_b32 v63, v1
	s_waitcnt lgkmcnt(2)
	v_add_u32_e32 v1, v1, v2
	s_waitcnt lgkmcnt(1)
	v_add_u32_e32 v0, v3, v0
	ds_write_b32 v46, v1
	ds_write_b32 v64, v3
	ds_write_b32 v41, v0
.LBB5_73:                               ;   in Loop: Header=BB5_39 Depth=1
	s_or_b64 exec, exec, s[0:1]
	s_waitcnt lgkmcnt(0)
	s_barrier
	s_and_saveexec_b64 s[0:1], s[26:27]
	s_cbranch_execz .LBB5_75
; %bb.74:                               ;   in Loop: Header=BB5_39 Depth=1
	ds_read_b32 v0, v62
	ds_read_b32 v1, v46
	ds_read_b32 v2, v61
	ds_read_b32 v3, v41
	s_waitcnt lgkmcnt(2)
	ds_write_b32 v61, v1
	s_waitcnt lgkmcnt(2)
	v_add_u32_e32 v1, v1, v2
	s_waitcnt lgkmcnt(1)
	v_add_u32_e32 v0, v3, v0
	ds_write_b32 v46, v1
	ds_write_b32 v62, v3
	ds_write_b32 v41, v0
.LBB5_75:                               ;   in Loop: Header=BB5_39 Depth=1
	s_or_b64 exec, exec, s[0:1]
	s_waitcnt lgkmcnt(0)
	s_barrier
	;; [unrolled: 20-line block ×6, first 2 shown]
	s_and_saveexec_b64 s[0:1], s[16:17]
	s_cbranch_execz .LBB5_85
; %bb.84:                               ;   in Loop: Header=BB5_39 Depth=1
	ds_read2_b32 v[0:1], v47 offset1:1
	ds_read2_b32 v[2:3], v52 offset1:1
	s_waitcnt lgkmcnt(1)
	v_add_u32_e32 v0, v1, v0
	s_waitcnt lgkmcnt(0)
	v_add_u32_e32 v2, v3, v2
	ds_write2_b32 v47, v1, v0 offset1:1
	ds_write2_b32 v52, v3, v2 offset1:1
.LBB5_85:                               ;   in Loop: Header=BB5_39 Depth=1
	s_or_b64 exec, exec, s[0:1]
	s_waitcnt lgkmcnt(0)
	s_barrier
	s_and_saveexec_b64 s[0:1], vcc
	s_cbranch_execz .LBB5_92
; %bb.86:                               ;   in Loop: Header=BB5_39 Depth=1
	ds_read_b32 v5, v41 offset:4
	ds_read_b32 v7, v46
	ds_read2_b64 v[0:3], v69 offset0:129 offset1:195
	s_mov_b64 s[2:3], 0
	v_mov_b32_e32 v44, v6
	s_waitcnt lgkmcnt(2)
	v_sub_u32_e32 v8, v43, v5
	s_waitcnt lgkmcnt(1)
	v_add_u32_e32 v10, v7, v42
	s_branch .LBB5_88
.LBB5_87:                               ;   in Loop: Header=BB5_88 Depth=2
	s_or_b64 exec, exec, s[4:5]
	v_add_u32_e32 v44, 0x80, v44
	v_cmp_ge_u32_e32 vcc, v44, v43
	s_or_b64 s[2:3], vcc, s[2:3]
	s_andn2_b64 exec, exec, s[2:3]
	s_cbranch_execz .LBB5_92
.LBB5_88:                               ;   Parent Loop BB5_39 Depth=1
                                        ; =>  This Inner Loop Header: Depth=2
	s_waitcnt lgkmcnt(0)
	v_lshl_add_u64 v[12:13], v[44:45], 2, v[0:1]
	flat_load_dword v5, v[12:13]
	s_waitcnt vmcnt(0) lgkmcnt(0)
	v_cvt_u32_f32_e32 v7, v5
	v_cvt_f32_u32_e32 v5, v7
	v_cmp_gt_u32_e32 vcc, v4, v7
	s_and_saveexec_b64 s[4:5], vcc
	s_cbranch_execz .LBB5_90
; %bb.89:                               ;   in Loop: Header=BB5_88 Depth=2
	v_mov_b32_e32 v11, v45
	v_add_u32_e32 v9, 1, v10
	v_lshl_add_u64 v[10:11], v[10:11], 2, v[2:3]
	flat_store_dword v[10:11], v5
	v_mov_b32_e32 v10, v9
.LBB5_90:                               ;   in Loop: Header=BB5_88 Depth=2
	s_or_b64 exec, exec, s[4:5]
	v_cmp_lt_u32_e32 vcc, v4, v7
	s_and_saveexec_b64 s[4:5], vcc
	s_cbranch_execz .LBB5_87
; %bb.91:                               ;   in Loop: Header=BB5_88 Depth=2
	v_mov_b32_e32 v9, v45
	v_add_u32_e32 v7, 1, v8
	v_lshl_add_u64 v[8:9], v[8:9], 2, v[2:3]
	flat_store_dword v[8:9], v5
	v_mov_b32_e32 v8, v7
	s_branch .LBB5_87
.LBB5_92:                               ;   in Loop: Header=BB5_39 Depth=1
	s_or_b64 exec, exec, s[0:1]
	s_waitcnt lgkmcnt(0)
	s_barrier
	ds_read2_b32 v[2:3], v68 offset0:133 offset1:154
	s_waitcnt lgkmcnt(0)
	v_add_u32_e32 v0, v6, v3
	v_sub_u32_e32 v5, v43, v2
	v_cmp_lt_u32_e32 vcc, v0, v5
	s_and_saveexec_b64 s[0:1], vcc
	s_cbranch_execz .LBB5_102
; %bb.93:                               ;   in Loop: Header=BB5_39 Depth=1
	v_add_u32_e32 v2, v42, v3
	v_add_u32_e32 v1, v2, v65
	v_cvt_f32_u32_e32 v4, v4
	v_max_u32_e32 v3, v1, v5
	v_add_u32_e32 v1, v3, v66
	v_sub_u32_e32 v1, v1, v2
	v_cmp_gt_u32_e64 s[2:3], s43, v1
	v_cmp_lt_u32_e32 vcc, s44, v1
	s_and_saveexec_b64 s[4:5], vcc
	s_cbranch_execz .LBB5_99
; %bb.94:                               ;   in Loop: Header=BB5_39 Depth=1
	v_sub_u32_e32 v3, v40, v3
	v_add_u32_e32 v2, v3, v2
	v_add_u32_e32 v6, s34, v0
	v_or_b32_e32 v2, 0x7f, v2
	v_cmp_ge_u32_e32 vcc, v2, v6
	s_mov_b64 s[8:9], -1
	s_and_saveexec_b64 s[6:7], vcc
	s_cbranch_execz .LBB5_98
; %bb.95:                               ;   in Loop: Header=BB5_39 Depth=1
	v_lshrrev_b32_e32 v1, 7, v1
	v_add_u32_e32 v6, 1, v1
	v_and_b32_e32 v7, 0x3fffffe, v6
	v_add_u32_e32 v1, 0x80, v0
	s_mov_b64 s[8:9], 0
	v_mov_b32_e32 v8, v7
	v_mov_b64_e32 v[2:3], v[0:1]
.LBB5_96:                               ;   Parent Loop BB5_39 Depth=1
                                        ; =>  This Inner Loop Header: Depth=2
	v_add_u32_e32 v8, -2, v8
	v_add_u32_e32 v10, s38, v3
	v_add_u32_e32 v44, s34, v2
	v_mov_b32_e32 v11, v45
	v_cmp_eq_u32_e32 vcc, 0, v8
	v_add_u32_e32 v3, 0x100, v3
	v_add_u32_e32 v2, 0x100, v2
	v_lshl_add_u64 v[12:13], v[44:45], 2, s[36:37]
	v_lshl_add_u64 v[10:11], v[10:11], 2, s[36:37]
	s_or_b64 s[8:9], vcc, s[8:9]
	global_store_dword v[12:13], v4, off
	global_store_dword v[10:11], v4, off
	s_andn2_b64 exec, exec, s[8:9]
	s_cbranch_execnz .LBB5_96
; %bb.97:                               ;   in Loop: Header=BB5_39 Depth=1
	s_or_b64 exec, exec, s[8:9]
	v_cmp_ne_u32_e32 vcc, v6, v7
	v_lshl_add_u32 v0, v7, 7, v0
	s_orn2_b64 s[8:9], vcc, exec
.LBB5_98:                               ;   in Loop: Header=BB5_39 Depth=1
	s_or_b64 exec, exec, s[6:7]
	s_andn2_b64 s[2:3], s[2:3], exec
	s_and_b64 s[6:7], s[8:9], exec
	s_or_b64 s[2:3], s[2:3], s[6:7]
.LBB5_99:                               ;   in Loop: Header=BB5_39 Depth=1
	s_or_b64 exec, exec, s[4:5]
	s_and_b64 exec, exec, s[2:3]
	s_cbranch_execz .LBB5_102
; %bb.100:                              ;   in Loop: Header=BB5_39 Depth=1
	s_mov_b64 s[2:3], 0
.LBB5_101:                              ;   Parent Loop BB5_39 Depth=1
                                        ; =>  This Inner Loop Header: Depth=2
	v_add_u32_e32 v44, s34, v0
	v_add_u32_e32 v0, 0x80, v0
	v_cmp_ge_u32_e32 vcc, v0, v5
	v_lshl_add_u64 v[2:3], v[44:45], 2, s[36:37]
	s_or_b64 s[2:3], vcc, s[2:3]
	global_store_dword v[2:3], v4, off
	s_andn2_b64 exec, exec, s[2:3]
	s_cbranch_execnz .LBB5_101
.LBB5_102:                              ;   in Loop: Header=BB5_39 Depth=1
	s_or_b64 exec, exec, s[0:1]
	s_barrier
	ds_read_b32 v2, v45 offset:15976
	s_mov_b64 s[0:1], -1
	s_waitcnt lgkmcnt(0)
	v_cmp_lt_u32_e32 vcc, s42, v2
	s_cbranch_vccz .LBB5_106
; %bb.103:                              ;   in Loop: Header=BB5_39 Depth=1
	s_and_saveexec_b64 s[0:1], s[14:15]
	s_cbranch_execz .LBB5_105
; %bb.104:                              ;   in Loop: Header=BB5_39 Depth=1
	ds_read_b32 v0, v45 offset:15364
	v_add_u32_e32 v1, v2, v42
	v_xor_b32_e32 v3, 1, v70
	s_waitcnt lgkmcnt(0)
	v_add_u32_e32 v4, 1, v0
	v_mul_lo_u32 v0, v0, 12
	ds_write_b32 v45, v4 offset:15364
	v_add_u32_e32 v4, 0x3e2c, v0
	ds_write2_b32 v4, v42, v1 offset1:1
	ds_write_b32 v0, v3 offset:15924
.LBB5_105:                              ;   in Loop: Header=BB5_39 Depth=1
	s_or_b64 exec, exec, s[0:1]
	s_mov_b64 s[0:1], 0
	s_waitcnt lgkmcnt(0)
	s_barrier
.LBB5_106:                              ;   in Loop: Header=BB5_39 Depth=1
	s_and_b64 vcc, exec, s[0:1]
	s_cbranch_vccz .LBB5_108
; %bb.107:                              ;   in Loop: Header=BB5_39 Depth=1
	ds_read_b64 v[0:1], v45 offset:15896
	s_add_u32 s8, s12, 24
	s_addc_u32 s9, s13, 0
	v_add_u32_e32 v5, v2, v42
	s_getpc_b64 s[0:1]
	s_add_u32 s0, s0, _Z14sort_thresholdIfEvPT_S1_jjS1_j@rel32@lo+4
	s_addc_u32 s1, s1, _Z14sort_thresholdIfEvPT_S1_jjS1_j@rel32@hi+12
	v_mov_b32_e32 v2, s33
	v_mov_b32_e32 v3, s35
	;; [unrolled: 1-line block ×4, first 2 shown]
	s_swappc_b64 s[30:31], s[0:1]
.LBB5_108:                              ;   in Loop: Header=BB5_39 Depth=1
	ds_read_b32 v2, v45 offset:15892
	s_mov_b64 s[0:1], -1
	s_waitcnt lgkmcnt(0)
	v_cmp_lt_u32_e32 vcc, s42, v2
	s_cbranch_vccnz .LBB5_110
; %bb.109:                              ;   in Loop: Header=BB5_39 Depth=1
	s_and_b64 vcc, exec, s[0:1]
	s_cbranch_vccz .LBB5_38
	s_branch .LBB5_113
.LBB5_110:                              ;   in Loop: Header=BB5_39 Depth=1
	s_and_saveexec_b64 s[0:1], s[14:15]
	s_cbranch_execz .LBB5_112
; %bb.111:                              ;   in Loop: Header=BB5_39 Depth=1
	ds_read_b32 v0, v45 offset:15364
	v_sub_u32_e32 v1, v43, v2
	v_xor_b32_e32 v3, 1, v70
	s_waitcnt lgkmcnt(0)
	v_add_u32_e32 v4, 1, v0
	v_mul_lo_u32 v0, v0, 12
	ds_write_b32 v45, v4 offset:15364
	v_add_u32_e32 v4, 0x3e2c, v0
	ds_write2_b32 v4, v1, v43 offset1:1
	ds_write_b32 v0, v3 offset:15924
.LBB5_112:                              ;   in Loop: Header=BB5_39 Depth=1
	s_or_b64 exec, exec, s[0:1]
	s_waitcnt lgkmcnt(0)
	s_barrier
	s_branch .LBB5_38
.LBB5_113:                              ;   in Loop: Header=BB5_39 Depth=1
	ds_read_b64 v[0:1], v45 offset:15896
	s_add_u32 s8, s12, 24
	s_addc_u32 s9, s13, 0
	v_sub_u32_e32 v4, v43, v2
	s_getpc_b64 s[0:1]
	s_add_u32 s0, s0, _Z14sort_thresholdIfEvPT_S1_jjS1_j@rel32@lo+4
	s_addc_u32 s1, s1, _Z14sort_thresholdIfEvPT_S1_jjS1_j@rel32@hi+12
	v_mov_b32_e32 v2, s33
	v_mov_b32_e32 v3, s35
	;; [unrolled: 1-line block ×4, first 2 shown]
	s_swappc_b64 s[30:31], s[0:1]
	s_branch .LBB5_38
.LBB5_114:
	s_endpgm
	.section	.rodata,"a",@progbits
	.p2align	6, 0x0
	.amdhsa_kernel _Z13lqsort_kernelIfEvPT_S1_P11work_recordIS0_E
		.amdhsa_group_segment_fixed_size 15984
		.amdhsa_private_segment_fixed_size 0
		.amdhsa_kernarg_size 280
		.amdhsa_user_sgpr_count 2
		.amdhsa_user_sgpr_dispatch_ptr 0
		.amdhsa_user_sgpr_queue_ptr 0
		.amdhsa_user_sgpr_kernarg_segment_ptr 1
		.amdhsa_user_sgpr_dispatch_id 0
		.amdhsa_user_sgpr_kernarg_preload_length 0
		.amdhsa_user_sgpr_kernarg_preload_offset 0
		.amdhsa_user_sgpr_private_segment_size 0
		.amdhsa_uses_dynamic_stack 0
		.amdhsa_enable_private_segment 0
		.amdhsa_system_sgpr_workgroup_id_x 1
		.amdhsa_system_sgpr_workgroup_id_y 0
		.amdhsa_system_sgpr_workgroup_id_z 0
		.amdhsa_system_sgpr_workgroup_info 0
		.amdhsa_system_vgpr_workitem_id 0
		.amdhsa_next_free_vgpr 71
		.amdhsa_next_free_sgpr 45
		.amdhsa_accum_offset 72
		.amdhsa_reserve_vcc 1
		.amdhsa_float_round_mode_32 0
		.amdhsa_float_round_mode_16_64 0
		.amdhsa_float_denorm_mode_32 3
		.amdhsa_float_denorm_mode_16_64 3
		.amdhsa_dx10_clamp 1
		.amdhsa_ieee_mode 1
		.amdhsa_fp16_overflow 0
		.amdhsa_tg_split 0
		.amdhsa_exception_fp_ieee_invalid_op 0
		.amdhsa_exception_fp_denorm_src 0
		.amdhsa_exception_fp_ieee_div_zero 0
		.amdhsa_exception_fp_ieee_overflow 0
		.amdhsa_exception_fp_ieee_underflow 0
		.amdhsa_exception_fp_ieee_inexact 0
		.amdhsa_exception_int_div_zero 0
	.end_amdhsa_kernel
	.section	.text._Z13lqsort_kernelIfEvPT_S1_P11work_recordIS0_E,"axG",@progbits,_Z13lqsort_kernelIfEvPT_S1_P11work_recordIS0_E,comdat
.Lfunc_end5:
	.size	_Z13lqsort_kernelIfEvPT_S1_P11work_recordIS0_E, .Lfunc_end5-_Z13lqsort_kernelIfEvPT_S1_P11work_recordIS0_E
                                        ; -- End function
	.set _Z13lqsort_kernelIfEvPT_S1_P11work_recordIS0_E.num_vgpr, max(71, .L_Z14sort_thresholdIfEvPT_S1_jjS1_j.num_vgpr)
	.set _Z13lqsort_kernelIfEvPT_S1_P11work_recordIS0_E.num_agpr, max(0, .L_Z14sort_thresholdIfEvPT_S1_jjS1_j.num_agpr)
	.set _Z13lqsort_kernelIfEvPT_S1_P11work_recordIS0_E.numbered_sgpr, max(45, .L_Z14sort_thresholdIfEvPT_S1_jjS1_j.numbered_sgpr)
	.set _Z13lqsort_kernelIfEvPT_S1_P11work_recordIS0_E.num_named_barrier, max(0, .L_Z14sort_thresholdIfEvPT_S1_jjS1_j.num_named_barrier)
	.set _Z13lqsort_kernelIfEvPT_S1_P11work_recordIS0_E.private_seg_size, 0+max(.L_Z14sort_thresholdIfEvPT_S1_jjS1_j.private_seg_size)
	.set _Z13lqsort_kernelIfEvPT_S1_P11work_recordIS0_E.uses_vcc, or(1, .L_Z14sort_thresholdIfEvPT_S1_jjS1_j.uses_vcc)
	.set _Z13lqsort_kernelIfEvPT_S1_P11work_recordIS0_E.uses_flat_scratch, or(0, .L_Z14sort_thresholdIfEvPT_S1_jjS1_j.uses_flat_scratch)
	.set _Z13lqsort_kernelIfEvPT_S1_P11work_recordIS0_E.has_dyn_sized_stack, or(0, .L_Z14sort_thresholdIfEvPT_S1_jjS1_j.has_dyn_sized_stack)
	.set _Z13lqsort_kernelIfEvPT_S1_P11work_recordIS0_E.has_recursion, or(0, .L_Z14sort_thresholdIfEvPT_S1_jjS1_j.has_recursion)
	.set _Z13lqsort_kernelIfEvPT_S1_P11work_recordIS0_E.has_indirect_call, or(0, .L_Z14sort_thresholdIfEvPT_S1_jjS1_j.has_indirect_call)
	.section	.AMDGPU.csdata,"",@progbits
; Kernel info:
; codeLenInByte = 5688
; TotalNumSgprs: 51
; NumVgprs: 71
; NumAgprs: 0
; TotalNumVgprs: 71
; ScratchSize: 0
; MemoryBound: 0
; FloatMode: 240
; IeeeMode: 1
; LDSByteSize: 15984 bytes/workgroup (compile time only)
; SGPRBlocks: 6
; VGPRBlocks: 8
; NumSGPRsForWavesPerEU: 51
; NumVGPRsForWavesPerEU: 71
; AccumOffset: 72
; Occupancy: 7
; WaveLimiterHint : 1
; COMPUTE_PGM_RSRC2:SCRATCH_EN: 0
; COMPUTE_PGM_RSRC2:USER_SGPR: 2
; COMPUTE_PGM_RSRC2:TRAP_HANDLER: 0
; COMPUTE_PGM_RSRC2:TGID_X_EN: 1
; COMPUTE_PGM_RSRC2:TGID_Y_EN: 0
; COMPUTE_PGM_RSRC2:TGID_Z_EN: 0
; COMPUTE_PGM_RSRC2:TIDIG_COMP_CNT: 0
; COMPUTE_PGM_RSRC3_GFX90A:ACCUM_OFFSET: 17
; COMPUTE_PGM_RSRC3_GFX90A:TG_SPLIT: 0
	.section	.text._Z13gqsort_kernelIdEvPT_S1_P12block_recordIS0_EP13parent_recordP11work_recordIS0_E,"axG",@progbits,_Z13gqsort_kernelIdEvPT_S1_P12block_recordIS0_EP13parent_recordP11work_recordIS0_E,comdat
	.protected	_Z13gqsort_kernelIdEvPT_S1_P12block_recordIS0_EP13parent_recordP11work_recordIS0_E ; -- Begin function _Z13gqsort_kernelIdEvPT_S1_P12block_recordIS0_EP13parent_recordP11work_recordIS0_E
	.globl	_Z13gqsort_kernelIdEvPT_S1_P12block_recordIS0_EP13parent_recordP11work_recordIS0_E
	.p2align	8
	.type	_Z13gqsort_kernelIdEvPT_S1_P12block_recordIS0_EP13parent_recordP11work_recordIS0_E,@function
_Z13gqsort_kernelIdEvPT_S1_P12block_recordIS0_EP13parent_recordP11work_recordIS0_E: ; @_Z13gqsort_kernelIdEvPT_S1_P12block_recordIS0_EP13parent_recordP11work_recordIS0_E
; %bb.0:
	s_load_dwordx8 s[16:23], s[0:1], 0x0
	s_mul_i32 s4, s2, 24
	s_mul_hi_u32 s3, s2, 24
	v_lshlrev_b32_e32 v1, 2, v0
	v_mov_b32_e32 v3, 0
	s_waitcnt lgkmcnt(0)
	s_add_u32 s4, s20, s4
	s_addc_u32 s5, s21, s3
	s_load_dwordx2 s[20:21], s[4:5], 0x10
	s_load_dwordx4 s[24:27], s[4:5], 0x0
	s_load_dwordx2 s[28:29], s[0:1], 0x20
	v_mov_b32_e32 v6, 0
	ds_write2_b32 v1, v3, v3 offset1:132
	s_waitcnt lgkmcnt(0)
	s_cmp_eq_u32 s20, 1
	s_cselect_b64 s[34:35], -1, 0
	s_and_b64 s[0:1], s[34:35], exec
	v_add_u32_e32 v2, s24, v0
	s_cselect_b32 s31, s17, s19
	s_cselect_b32 s30, s16, s18
	v_cmp_gt_u32_e32 vcc, s25, v2
	s_barrier
	s_and_saveexec_b64 s[4:5], vcc
	s_cbranch_execz .LBB6_4
; %bb.1:
	v_mov_b32_e32 v5, 0
	s_mov_b64 s[6:7], 0
	v_mov_b32_e32 v4, v2
	v_mov_b32_e32 v3, v5
	v_mov_b32_e32 v6, v5
.LBB6_2:                                ; =>This Inner Loop Header: Depth=1
	v_lshl_add_u64 v[8:9], v[4:5], 3, s[30:31]
	global_load_dwordx2 v[8:9], v[8:9], off
	v_add_u32_e32 v4, 0x80, v4
	v_cmp_le_u32_e64 s[0:1], s25, v4
	s_or_b64 s[6:7], s[0:1], s[6:7]
	s_waitcnt vmcnt(0)
	v_cvt_u32_f64_e32 v7, v[8:9]
	v_cvt_f64_u32_e32 v[8:9], v7
	v_cmp_gt_f64_e64 s[0:1], s[26:27], v[8:9]
	s_nop 1
	v_addc_co_u32_e64 v3, s[0:1], 0, v3, s[0:1]
	v_cmp_lt_f64_e64 s[0:1], s[26:27], v[8:9]
	s_nop 1
	v_addc_co_u32_e64 v6, s[0:1], 0, v6, s[0:1]
	s_andn2_b64 exec, exec, s[6:7]
	s_cbranch_execnz .LBB6_2
; %bb.3:
	s_or_b64 exec, exec, s[6:7]
.LBB6_4:
	s_or_b64 exec, exec, s[4:5]
	v_add_u32_e32 v4, 0x210, v1
	ds_write_b32 v4, v3
	ds_write_b32 v1, v6
	v_and_b32_e32 v3, 1, v0
	v_cmp_eq_u32_e64 s[0:1], 1, v3
	v_add_u32_e32 v3, -4, v4
	v_add_u32_e32 v5, -4, v1
	s_waitcnt lgkmcnt(0)
	s_barrier
	s_and_saveexec_b64 s[4:5], s[0:1]
	s_cbranch_execz .LBB6_6
; %bb.5:
	ds_read2_b32 v[6:7], v3 offset1:1
	ds_read2_b32 v[8:9], v5 offset1:1
	s_waitcnt lgkmcnt(1)
	v_add_u32_e32 v6, v7, v6
	s_waitcnt lgkmcnt(0)
	v_add_u32_e32 v7, v9, v8
	ds_write_b32 v4, v6
	ds_write_b32 v1, v7
.LBB6_6:
	s_or_b64 exec, exec, s[4:5]
	v_and_b32_e32 v6, 3, v0
	v_cmp_eq_u32_e64 s[14:15], 3, v6
	v_add_u32_e32 v7, -8, v4
	v_add_u32_e32 v6, -8, v1
	s_waitcnt lgkmcnt(0)
	s_barrier
	s_and_saveexec_b64 s[4:5], s[14:15]
	s_cbranch_execz .LBB6_8
; %bb.7:
	ds_read_b32 v8, v7
	ds_read_b32 v9, v6
	;; [unrolled: 1-line block ×4, first 2 shown]
	s_waitcnt lgkmcnt(1)
	v_add_u32_e32 v8, v10, v8
	s_waitcnt lgkmcnt(0)
	v_add_u32_e32 v9, v11, v9
	ds_write_b32 v4, v8
	ds_write_b32 v1, v9
.LBB6_8:
	s_or_b64 exec, exec, s[4:5]
	v_and_b32_e32 v8, 7, v0
	v_cmp_eq_u32_e64 s[4:5], 7, v8
	v_add_u32_e32 v9, -16, v4
	v_add_u32_e32 v8, -16, v1
	s_waitcnt lgkmcnt(0)
	s_barrier
	s_and_saveexec_b64 s[6:7], s[4:5]
	s_cbranch_execz .LBB6_10
; %bb.9:
	ds_read_b32 v10, v9
	ds_read_b32 v11, v8
	;; [unrolled: 1-line block ×4, first 2 shown]
	s_waitcnt lgkmcnt(1)
	v_add_u32_e32 v10, v12, v10
	s_waitcnt lgkmcnt(0)
	v_add_u32_e32 v11, v13, v11
	ds_write_b32 v4, v10
	ds_write_b32 v1, v11
.LBB6_10:
	s_or_b64 exec, exec, s[6:7]
	v_and_b32_e32 v10, 15, v0
	v_cmp_eq_u32_e64 s[6:7], 15, v10
	v_subrev_u32_e32 v11, 32, v4
	v_subrev_u32_e32 v10, 32, v1
	s_waitcnt lgkmcnt(0)
	s_barrier
	s_and_saveexec_b64 s[8:9], s[6:7]
	s_cbranch_execz .LBB6_12
; %bb.11:
	ds_read_b32 v12, v11
	ds_read_b32 v13, v10
	;; [unrolled: 1-line block ×4, first 2 shown]
	s_waitcnt lgkmcnt(1)
	v_add_u32_e32 v12, v14, v12
	s_waitcnt lgkmcnt(0)
	v_add_u32_e32 v13, v15, v13
	ds_write_b32 v4, v12
	ds_write_b32 v1, v13
.LBB6_12:
	s_or_b64 exec, exec, s[8:9]
	v_and_b32_e32 v12, 31, v0
	v_cmp_eq_u32_e64 s[8:9], 31, v12
	v_subrev_u32_e32 v13, 64, v4
	v_subrev_u32_e32 v12, 64, v1
	s_waitcnt lgkmcnt(0)
	s_barrier
	s_and_saveexec_b64 s[10:11], s[8:9]
	s_cbranch_execz .LBB6_14
; %bb.13:
	ds_read_b32 v14, v13
	ds_read_b32 v15, v12
	;; [unrolled: 1-line block ×4, first 2 shown]
	s_waitcnt lgkmcnt(1)
	v_add_u32_e32 v14, v16, v14
	s_waitcnt lgkmcnt(0)
	v_add_u32_e32 v15, v17, v15
	ds_write_b32 v4, v14
	ds_write_b32 v1, v15
.LBB6_14:
	s_or_b64 exec, exec, s[10:11]
	v_and_b32_e32 v14, 63, v0
	v_cmp_eq_u32_e64 s[10:11], 63, v14
	s_waitcnt lgkmcnt(0)
	s_barrier
	s_and_saveexec_b64 s[12:13], s[10:11]
	s_cbranch_execz .LBB6_16
; %bb.15:
	v_add_u32_e32 v14, 0xffffff80, v4
	v_add_u32_e32 v15, 0xffffff80, v1
	ds_read_b32 v14, v14
	ds_read_b32 v15, v15
	;; [unrolled: 1-line block ×4, first 2 shown]
	s_waitcnt lgkmcnt(1)
	v_add_u32_e32 v14, v16, v14
	ds_write_b32 v4, v14
	s_waitcnt lgkmcnt(1)
	v_add_u32_e32 v14, v17, v15
	ds_write_b32 v1, v14
.LBB6_16:
	s_or_b64 exec, exec, s[12:13]
	s_movk_i32 s3, 0x7f
	v_and_b32_e32 v14, 0x7f, v0
	v_cmp_eq_u32_e64 s[12:13], s3, v14
	s_waitcnt lgkmcnt(0)
	s_barrier
	s_and_saveexec_b64 s[36:37], s[12:13]
	s_cbranch_execz .LBB6_18
; %bb.17:
	v_add_u32_e32 v14, 0xffffff00, v4
	v_add_u32_e32 v15, 0xffffff00, v1
	ds_read_b32 v14, v14
	ds_read_b32 v15, v15
	;; [unrolled: 1-line block ×4, first 2 shown]
	s_waitcnt lgkmcnt(1)
	v_add_u32_e32 v14, v16, v14
	ds_write_b32 v4, v14
	s_waitcnt lgkmcnt(1)
	v_add_u32_e32 v14, v17, v15
	ds_write_b32 v1, v14
.LBB6_18:
	s_or_b64 exec, exec, s[36:37]
	s_waitcnt lgkmcnt(0)
	s_barrier
	s_and_saveexec_b64 s[36:37], s[12:13]
	s_cbranch_execz .LBB6_20
; %bb.19:
	ds_read_b32 v14, v4
	ds_read_b32 v16, v1
	v_mov_b32_e32 v17, 0
	s_waitcnt lgkmcnt(1)
	v_mov_b32_e32 v15, v14
	s_waitcnt lgkmcnt(0)
	ds_write2_b32 v17, v16, v16 offset0:128 offset1:131
	ds_write_b64 v17, v[14:15] offset:1040
	ds_write_b32 v4, v17
	ds_write_b32 v1, v17
.LBB6_20:
	s_or_b64 exec, exec, s[36:37]
	s_and_saveexec_b64 s[36:37], s[12:13]
	s_cbranch_execz .LBB6_22
; %bb.21:
	v_add_u32_e32 v15, 0xffffff00, v1
	v_add_u32_e32 v14, 0xffffff00, v4
	ds_read_b32 v16, v15
	ds_read_b32 v17, v4
	;; [unrolled: 1-line block ×4, first 2 shown]
	s_waitcnt lgkmcnt(2)
	ds_write_b32 v14, v17
	s_waitcnt lgkmcnt(2)
	v_add_u32_e32 v14, v17, v18
	ds_write_b32 v4, v14
	s_waitcnt lgkmcnt(2)
	ds_write_b32 v15, v19
	v_add_u32_e32 v14, v19, v16
	ds_write_b32 v1, v14
.LBB6_22:
	s_or_b64 exec, exec, s[36:37]
	s_waitcnt lgkmcnt(0)
	s_barrier
	s_and_saveexec_b64 s[12:13], s[10:11]
	s_cbranch_execz .LBB6_24
; %bb.23:
	v_add_u32_e32 v15, 0xffffff80, v1
	v_add_u32_e32 v14, 0xffffff80, v4
	ds_read_b32 v16, v15
	ds_read_b32 v17, v4
	;; [unrolled: 1-line block ×4, first 2 shown]
	s_waitcnt lgkmcnt(2)
	ds_write_b32 v14, v17
	s_waitcnt lgkmcnt(2)
	v_add_u32_e32 v14, v17, v18
	ds_write_b32 v4, v14
	s_waitcnt lgkmcnt(2)
	ds_write_b32 v15, v19
	v_add_u32_e32 v14, v19, v16
	ds_write_b32 v1, v14
.LBB6_24:
	s_or_b64 exec, exec, s[12:13]
	s_waitcnt lgkmcnt(0)
	s_barrier
	s_and_saveexec_b64 s[10:11], s[8:9]
	s_cbranch_execz .LBB6_26
; %bb.25:
	ds_read_b32 v14, v12
	ds_read_b32 v15, v4
	ds_read_b32 v16, v13
	ds_read_b32 v17, v1
	s_waitcnt lgkmcnt(2)
	ds_write_b32 v13, v15
	s_waitcnt lgkmcnt(2)
	v_add_u32_e32 v13, v15, v16
	ds_write_b32 v4, v13
	s_waitcnt lgkmcnt(2)
	ds_write_b32 v12, v17
	v_add_u32_e32 v12, v17, v14
	ds_write_b32 v1, v12
.LBB6_26:
	s_or_b64 exec, exec, s[10:11]
	s_waitcnt lgkmcnt(0)
	s_barrier
	s_and_saveexec_b64 s[8:9], s[6:7]
	s_cbranch_execz .LBB6_28
; %bb.27:
	ds_read_b32 v12, v10
	ds_read_b32 v13, v4
	ds_read_b32 v14, v11
	ds_read_b32 v15, v1
	s_waitcnt lgkmcnt(2)
	ds_write_b32 v11, v13
	s_waitcnt lgkmcnt(2)
	v_add_u32_e32 v11, v13, v14
	ds_write_b32 v4, v11
	s_waitcnt lgkmcnt(2)
	ds_write_b32 v10, v15
	v_add_u32_e32 v10, v15, v12
	ds_write_b32 v1, v10
.LBB6_28:
	s_or_b64 exec, exec, s[8:9]
	s_waitcnt lgkmcnt(0)
	s_barrier
	s_and_saveexec_b64 s[6:7], s[4:5]
	s_cbranch_execz .LBB6_30
; %bb.29:
	ds_read_b32 v10, v8
	ds_read_b32 v11, v4
	ds_read_b32 v12, v9
	ds_read_b32 v13, v1
	s_waitcnt lgkmcnt(2)
	ds_write_b32 v9, v11
	s_waitcnt lgkmcnt(2)
	v_add_u32_e32 v9, v11, v12
	ds_write_b32 v4, v9
	s_waitcnt lgkmcnt(2)
	ds_write_b32 v8, v13
	v_add_u32_e32 v8, v13, v10
	ds_write_b32 v1, v8
.LBB6_30:
	s_or_b64 exec, exec, s[6:7]
	s_waitcnt lgkmcnt(0)
	s_barrier
	s_and_saveexec_b64 s[4:5], s[14:15]
	s_cbranch_execz .LBB6_32
; %bb.31:
	ds_read_b32 v8, v6
	ds_read_b32 v9, v4
	ds_read_b32 v10, v7
	ds_read_b32 v11, v1
	s_waitcnt lgkmcnt(2)
	ds_write_b32 v7, v9
	s_waitcnt lgkmcnt(2)
	v_add_u32_e32 v7, v9, v10
	ds_write_b32 v4, v7
	s_waitcnt lgkmcnt(2)
	ds_write_b32 v6, v11
	v_add_u32_e32 v6, v11, v8
	ds_write_b32 v1, v6
.LBB6_32:
	s_or_b64 exec, exec, s[4:5]
	s_waitcnt lgkmcnt(0)
	s_barrier
	s_and_saveexec_b64 s[4:5], s[0:1]
	s_cbranch_execz .LBB6_34
; %bb.33:
	ds_read2_b32 v[6:7], v3 offset1:1
	ds_read2_b32 v[8:9], v5 offset1:1
	s_waitcnt lgkmcnt(1)
	v_add_u32_e32 v6, v7, v6
	s_waitcnt lgkmcnt(0)
	v_add_u32_e32 v8, v9, v8
	ds_write2_b32 v3, v7, v6 offset1:1
	ds_write2_b32 v5, v9, v8 offset1:1
.LBB6_34:
	s_or_b64 exec, exec, s[4:5]
	v_cmp_eq_u32_e64 s[0:1], 0, v0
	s_waitcnt lgkmcnt(0)
	s_barrier
                                        ; implicit-def: $sgpr14_sgpr15
                                        ; implicit-def: $sgpr12_sgpr13
                                        ; implicit-def: $sgpr10_sgpr11
                                        ; implicit-def: $sgpr8_sgpr9
                                        ; implicit-def: $sgpr6_sgpr7
	s_and_saveexec_b64 s[36:37], s[0:1]
	s_cbranch_execz .LBB6_40
; %bb.35:
	v_mov_b32_e32 v3, 0
	ds_read_b32 v5, v3 offset:1044
	s_mov_b64 s[8:9], exec
	s_mul_i32 s4, s21, 20
	v_mbcnt_lo_u32_b32 v0, s8, 0
	s_mul_hi_u32 s3, s21, 20
	s_add_u32 s6, s22, s4
	v_mbcnt_hi_u32_b32 v6, s9, v0
	s_addc_u32 s7, s23, s3
	v_cmp_eq_u32_e64 s[4:5], 0, v6
                                        ; implicit-def: $vgpr7
	s_and_saveexec_b64 s[10:11], s[4:5]
	s_cbranch_execz .LBB6_37
; %bb.36:
	s_bcnt1_i32_b64 s3, s[8:9]
	s_waitcnt lgkmcnt(0)
	v_mul_lo_u32 v0, v5, s3
	global_atomic_add v7, v3, v0, s[6:7] sc0
.LBB6_37:
	s_or_b64 exec, exec, s[10:11]
	ds_read_b32 v0, v3 offset:524
	s_waitcnt vmcnt(0)
	v_readfirstlane_b32 s3, v7
	s_waitcnt lgkmcnt(1)
	v_mul_lo_u32 v5, v5, v6
	s_mov_b64 s[10:11], exec
	v_add_u32_e32 v5, s3, v5
	ds_write_b32 v3, v5 offset:520
	v_mbcnt_lo_u32_b32 v5, s10, 0
	s_add_u32 s8, s6, 4
	v_mbcnt_hi_u32_b32 v5, s11, v5
	s_addc_u32 s9, s7, 0
	s_waitcnt lgkmcnt(1)
	v_sub_u32_e32 v3, 0, v0
	v_cmp_eq_u32_e64 s[4:5], 0, v5
                                        ; implicit-def: $vgpr6
	s_and_saveexec_b64 s[12:13], s[4:5]
	s_cbranch_execz .LBB6_39
; %bb.38:
	s_bcnt1_i32_b64 s3, s[10:11]
	v_mul_lo_u32 v6, v3, s3
	v_mov_b32_e32 v7, 0
	global_atomic_add v6, v7, v6, s[8:9] sc0
.LBB6_39:
	s_or_b64 exec, exec, s[12:13]
	s_add_u32 s10, s6, 8
	s_addc_u32 s11, s7, 0
	s_add_u32 s12, s6, 12
	s_addc_u32 s13, s7, 0
	s_waitcnt vmcnt(0)
	v_readfirstlane_b32 s3, v6
	v_mul_lo_u32 v3, v3, v5
	s_add_u32 s14, s6, 16
	v_add_u32_e32 v3, s3, v3
	s_addc_u32 s15, s7, 0
	v_sub_u32_e32 v0, v3, v0
	v_mov_b32_e32 v3, 0
	ds_write_b32 v3, v0 offset:516
.LBB6_40:
	s_or_b64 exec, exec, s[36:37]
	s_and_b64 s[4:5], s[34:35], exec
	s_cselect_b32 s5, s19, s17
	s_cselect_b32 s4, s18, s16
	s_waitcnt lgkmcnt(0)
	s_barrier
	s_and_saveexec_b64 s[18:19], vcc
	s_cbranch_execz .LBB6_47
; %bb.41:
	v_mov_b32_e32 v3, 0
	ds_read_b32 v5, v1
	ds_read2_b32 v[0:1], v3 offset0:129 offset1:130
	ds_read_b32 v4, v4
	s_mov_b64 s[22:23], 0
	s_waitcnt lgkmcnt(1)
	v_add_u32_e32 v0, v5, v0
	s_waitcnt lgkmcnt(0)
	v_add_u32_e32 v4, v4, v1
	s_branch .LBB6_43
.LBB6_42:                               ;   in Loop: Header=BB6_43 Depth=1
	s_or_b64 exec, exec, s[34:35]
	v_add_u32_e32 v2, 0x80, v2
	v_cmp_le_u32_e32 vcc, s25, v2
	s_or_b64 s[22:23], vcc, s[22:23]
	s_andn2_b64 exec, exec, s[22:23]
	s_cbranch_execz .LBB6_47
.LBB6_43:                               ; =>This Inner Loop Header: Depth=1
	v_lshl_add_u64 v[6:7], v[2:3], 3, s[30:31]
	global_load_dwordx2 v[6:7], v[6:7], off
	s_waitcnt vmcnt(0)
	v_cvt_u32_f64_e32 v1, v[6:7]
	v_cvt_f64_u32_e32 v[6:7], v1
	v_cmp_gt_f64_e32 vcc, s[26:27], v[6:7]
	s_and_saveexec_b64 s[34:35], vcc
	s_cbranch_execz .LBB6_45
; %bb.44:                               ;   in Loop: Header=BB6_43 Depth=1
	v_mov_b32_e32 v5, v3
	v_lshl_add_u64 v[8:9], v[4:5], 3, s[4:5]
	v_add_u32_e32 v4, 1, v4
	global_store_dwordx2 v[8:9], v[6:7], off
.LBB6_45:                               ;   in Loop: Header=BB6_43 Depth=1
	s_or_b64 exec, exec, s[34:35]
	v_cmp_lt_f64_e32 vcc, s[26:27], v[6:7]
	s_and_saveexec_b64 s[34:35], vcc
	s_cbranch_execz .LBB6_42
; %bb.46:                               ;   in Loop: Header=BB6_43 Depth=1
	v_mov_b32_e32 v1, v3
	v_lshl_add_u64 v[8:9], v[0:1], 3, s[4:5]
	v_add_u32_e32 v0, 1, v0
	global_store_dwordx2 v[8:9], v[6:7], off
	s_branch .LBB6_42
.LBB6_47:
	s_or_b64 exec, exec, s[18:19]
	s_barrier
	s_and_saveexec_b64 s[18:19], s[0:1]
	s_cbranch_execz .LBB6_59
; %bb.48:
	s_mov_b64 s[18:19], exec
	v_mbcnt_lo_u32_b32 v0, s18, 0
	v_mbcnt_hi_u32_b32 v0, s19, v0
	v_cmp_eq_u32_e32 vcc, 0, v0
                                        ; implicit-def: $vgpr1
	s_and_saveexec_b64 s[0:1], vcc
	s_cbranch_execz .LBB6_50
; %bb.49:
	s_bcnt1_i32_b64 s3, s[18:19]
	s_sub_i32 s3, 0, s3
	v_mov_b32_e32 v1, 0
	v_mov_b32_e32 v2, s3
	global_atomic_add v1, v1, v2, s[14:15] sc0
.LBB6_50:
	s_or_b64 exec, exec, s[0:1]
	s_waitcnt vmcnt(0)
	v_readfirstlane_b32 s0, v1
	s_nop 1
	v_sub_u32_e32 v0, s0, v0
	v_cmp_eq_u32_e32 vcc, 0, v0
	s_and_b64 exec, exec, vcc
	s_cbranch_execz .LBB6_59
; %bb.51:
	v_mov_b32_e32 v2, 0
	global_load_dword v0, v2, s[6:7]
	global_load_dword v1, v2, s[8:9]
	;; [unrolled: 1-line block ×4, first 2 shown]
	s_waitcnt vmcnt(3)
	v_readfirstlane_b32 s6, v0
	s_waitcnt vmcnt(2)
	v_cmp_ge_u32_e32 vcc, v0, v1
	v_readfirstlane_b32 s0, v1
	s_waitcnt vmcnt(1)
	v_readfirstlane_b32 s8, v3
	s_waitcnt vmcnt(0)
	v_readfirstlane_b32 s3, v4
	s_cbranch_vccnz .LBB6_54
; %bb.52:
	s_mov_b32 s7, 0
	s_lshl_b64 s[10:11], s[6:7], 3
	s_add_u32 s10, s16, s10
	s_addc_u32 s11, s17, s11
	v_mov_b64_e32 v[0:1], s[26:27]
	s_mov_b32 s1, s6
.LBB6_53:                               ; =>This Inner Loop Header: Depth=1
	s_add_i32 s1, s1, 1
	global_store_dwordx2 v2, v[0:1], s[10:11]
	s_add_u32 s10, s10, 8
	s_addc_u32 s11, s11, 0
	s_cmp_lt_u32 s1, s0
	s_cbranch_scc1 .LBB6_53
.LBB6_54:
	s_mov_b32 s9, 0
	s_lshl_b64 s[10:11], s[8:9], 3
	s_add_u32 s10, s4, s10
	s_addc_u32 s11, s5, s11
	s_add_i32 s12, s3, -1
	s_mov_b32 s13, s9
	s_lshl_b64 s[12:13], s[12:13], 3
	s_add_u32 s12, s4, s12
	s_addc_u32 s13, s5, s13
	global_load_dwordx2 v[4:5], v2, s[10:11]
	global_load_dwordx2 v[0:1], v2, s[12:13]
	s_cmp_ge_u32 s8, s6
	s_waitcnt vmcnt(1)
	v_cvt_u32_f64_e32 v2, v[4:5]
	s_cbranch_scc1 .LBB6_56
; %bb.55:
	s_add_i32 s1, s8, s6
	s_lshr_b32 s10, s1, 1
	s_mov_b32 s11, s9
	s_lshl_b64 s[10:11], s[10:11], 3
	s_add_u32 s10, s4, s10
	s_addc_u32 s11, s5, s11
	v_mov_b32_e32 v3, 0
	global_load_dwordx2 v[4:5], v3, s[10:11]
	s_add_i32 s10, s6, -1
	s_mov_b32 s11, s9
	s_lshl_b64 s[10:11], s[10:11], 3
	s_add_u32 s10, s4, s10
	s_addc_u32 s11, s5, s11
	global_load_dwordx2 v[6:7], v3, s[10:11]
	s_waitcnt vmcnt(1)
	v_cvt_u32_f64_e32 v3, v[4:5]
	v_max_u32_e32 v4, v2, v3
	v_min_u32_e32 v2, v2, v3
	s_waitcnt vmcnt(0)
	v_cvt_u32_f64_e32 v3, v[6:7]
	v_max_u32_e32 v2, v2, v3
	v_cmp_lt_u32_e32 vcc, v4, v3
	s_nop 1
	v_cndmask_b32_e32 v2, v2, v4, vcc
.LBB6_56:
	s_cmp_ge_u32 s0, s3
	s_waitcnt vmcnt(0)
	v_cvt_u32_f64_e32 v0, v[0:1]
	s_cbranch_scc1 .LBB6_58
; %bb.57:
	s_mov_b32 s1, 0
	s_lshl_b64 s[10:11], s[0:1], 3
	s_add_u32 s10, s4, s10
	s_addc_u32 s11, s5, s11
	s_add_i32 s7, s3, s0
	s_lshr_b32 s12, s7, 1
	s_mov_b32 s13, s1
	s_lshl_b64 s[12:13], s[12:13], 3
	v_mov_b32_e32 v1, 0
	s_add_u32 s4, s4, s12
	s_addc_u32 s5, s5, s13
	global_load_dwordx2 v[4:5], v1, s[10:11]
	global_load_dwordx2 v[6:7], v1, s[4:5]
	s_waitcnt vmcnt(1)
	v_cvt_u32_f64_e32 v1, v[4:5]
	s_waitcnt vmcnt(0)
	v_cvt_u32_f64_e32 v3, v[6:7]
	v_max_u32_e32 v4, v1, v3
	v_min_u32_e32 v1, v1, v3
	v_max_u32_e32 v1, v1, v0
	v_cmp_lt_u32_e32 vcc, v4, v0
	s_nop 1
	v_cndmask_b32_e32 v0, v1, v4, vcc
.LBB6_58:
	s_lshl_b32 s1, s2, 1
	s_mul_i32 s2, s2, 48
	s_mul_hi_u32 s1, s1, 24
	s_add_u32 s4, s28, s2
	s_addc_u32 s5, s29, s1
	v_mov_b32_e32 v6, 0
	s_xor_b32 s1, s20, 1
	v_cvt_f64_u32_e32 v[4:5], v2
	v_mov_b32_e32 v2, s8
	v_mov_b32_e32 v3, s6
	global_store_dwordx4 v6, v[2:5], s[4:5]
	v_mov_b32_e32 v1, s3
	s_nop 0
	v_mov_b32_e32 v4, s1
	v_cvt_f64_u32_e32 v[2:3], v0
	v_mov_b32_e32 v0, s0
	global_store_dword v6, v4, s[4:5] offset:16
	global_store_dwordx4 v6, v[0:3], s[4:5] offset:24
	global_store_dword v6, v4, s[4:5] offset:40
.LBB6_59:
	s_endpgm
	.section	.rodata,"a",@progbits
	.p2align	6, 0x0
	.amdhsa_kernel _Z13gqsort_kernelIdEvPT_S1_P12block_recordIS0_EP13parent_recordP11work_recordIS0_E
		.amdhsa_group_segment_fixed_size 1048
		.amdhsa_private_segment_fixed_size 0
		.amdhsa_kernarg_size 40
		.amdhsa_user_sgpr_count 2
		.amdhsa_user_sgpr_dispatch_ptr 0
		.amdhsa_user_sgpr_queue_ptr 0
		.amdhsa_user_sgpr_kernarg_segment_ptr 1
		.amdhsa_user_sgpr_dispatch_id 0
		.amdhsa_user_sgpr_kernarg_preload_length 0
		.amdhsa_user_sgpr_kernarg_preload_offset 0
		.amdhsa_user_sgpr_private_segment_size 0
		.amdhsa_uses_dynamic_stack 0
		.amdhsa_enable_private_segment 0
		.amdhsa_system_sgpr_workgroup_id_x 1
		.amdhsa_system_sgpr_workgroup_id_y 0
		.amdhsa_system_sgpr_workgroup_id_z 0
		.amdhsa_system_sgpr_workgroup_info 0
		.amdhsa_system_vgpr_workitem_id 0
		.amdhsa_next_free_vgpr 20
		.amdhsa_next_free_sgpr 38
		.amdhsa_accum_offset 20
		.amdhsa_reserve_vcc 1
		.amdhsa_float_round_mode_32 0
		.amdhsa_float_round_mode_16_64 0
		.amdhsa_float_denorm_mode_32 3
		.amdhsa_float_denorm_mode_16_64 3
		.amdhsa_dx10_clamp 1
		.amdhsa_ieee_mode 1
		.amdhsa_fp16_overflow 0
		.amdhsa_tg_split 0
		.amdhsa_exception_fp_ieee_invalid_op 0
		.amdhsa_exception_fp_denorm_src 0
		.amdhsa_exception_fp_ieee_div_zero 0
		.amdhsa_exception_fp_ieee_overflow 0
		.amdhsa_exception_fp_ieee_underflow 0
		.amdhsa_exception_fp_ieee_inexact 0
		.amdhsa_exception_int_div_zero 0
	.end_amdhsa_kernel
	.section	.text._Z13gqsort_kernelIdEvPT_S1_P12block_recordIS0_EP13parent_recordP11work_recordIS0_E,"axG",@progbits,_Z13gqsort_kernelIdEvPT_S1_P12block_recordIS0_EP13parent_recordP11work_recordIS0_E,comdat
.Lfunc_end6:
	.size	_Z13gqsort_kernelIdEvPT_S1_P12block_recordIS0_EP13parent_recordP11work_recordIS0_E, .Lfunc_end6-_Z13gqsort_kernelIdEvPT_S1_P12block_recordIS0_EP13parent_recordP11work_recordIS0_E
                                        ; -- End function
	.set _Z13gqsort_kernelIdEvPT_S1_P12block_recordIS0_EP13parent_recordP11work_recordIS0_E.num_vgpr, 20
	.set _Z13gqsort_kernelIdEvPT_S1_P12block_recordIS0_EP13parent_recordP11work_recordIS0_E.num_agpr, 0
	.set _Z13gqsort_kernelIdEvPT_S1_P12block_recordIS0_EP13parent_recordP11work_recordIS0_E.numbered_sgpr, 38
	.set _Z13gqsort_kernelIdEvPT_S1_P12block_recordIS0_EP13parent_recordP11work_recordIS0_E.num_named_barrier, 0
	.set _Z13gqsort_kernelIdEvPT_S1_P12block_recordIS0_EP13parent_recordP11work_recordIS0_E.private_seg_size, 0
	.set _Z13gqsort_kernelIdEvPT_S1_P12block_recordIS0_EP13parent_recordP11work_recordIS0_E.uses_vcc, 1
	.set _Z13gqsort_kernelIdEvPT_S1_P12block_recordIS0_EP13parent_recordP11work_recordIS0_E.uses_flat_scratch, 0
	.set _Z13gqsort_kernelIdEvPT_S1_P12block_recordIS0_EP13parent_recordP11work_recordIS0_E.has_dyn_sized_stack, 0
	.set _Z13gqsort_kernelIdEvPT_S1_P12block_recordIS0_EP13parent_recordP11work_recordIS0_E.has_recursion, 0
	.set _Z13gqsort_kernelIdEvPT_S1_P12block_recordIS0_EP13parent_recordP11work_recordIS0_E.has_indirect_call, 0
	.section	.AMDGPU.csdata,"",@progbits
; Kernel info:
; codeLenInByte = 2932
; TotalNumSgprs: 44
; NumVgprs: 20
; NumAgprs: 0
; TotalNumVgprs: 20
; ScratchSize: 0
; MemoryBound: 0
; FloatMode: 240
; IeeeMode: 1
; LDSByteSize: 1048 bytes/workgroup (compile time only)
; SGPRBlocks: 5
; VGPRBlocks: 2
; NumSGPRsForWavesPerEU: 44
; NumVGPRsForWavesPerEU: 20
; AccumOffset: 20
; Occupancy: 8
; WaveLimiterHint : 1
; COMPUTE_PGM_RSRC2:SCRATCH_EN: 0
; COMPUTE_PGM_RSRC2:USER_SGPR: 2
; COMPUTE_PGM_RSRC2:TRAP_HANDLER: 0
; COMPUTE_PGM_RSRC2:TGID_X_EN: 1
; COMPUTE_PGM_RSRC2:TGID_Y_EN: 0
; COMPUTE_PGM_RSRC2:TGID_Z_EN: 0
; COMPUTE_PGM_RSRC2:TIDIG_COMP_CNT: 0
; COMPUTE_PGM_RSRC3_GFX90A:ACCUM_OFFSET: 4
; COMPUTE_PGM_RSRC3_GFX90A:TG_SPLIT: 0
	.text
	.p2align	2                               ; -- Begin function _Z14sort_thresholdIdEvPT_S1_jjS1_j
	.type	_Z14sort_thresholdIdEvPT_S1_jjS1_j,@function
_Z14sort_thresholdIdEvPT_S1_jjS1_j:     ; @_Z14sort_thresholdIdEvPT_S1_jjS1_j
; %bb.0:
	s_waitcnt vmcnt(0) expcnt(0) lgkmcnt(0)
	v_sub_u32_e32 v5, v5, v4
	s_movk_i32 s0, 0x100
	v_cmp_ne_u32_e32 vcc, s0, v5
	s_and_saveexec_b64 s[0:1], vcc
	s_xor_b64 s[2:3], exec, s[0:1]
	s_cbranch_execnz .LBB7_3
; %bb.1:
	s_andn2_saveexec_b64 s[0:1], s[2:3]
	s_cbranch_execnz .LBB7_18
.LBB7_2:
	s_or_b64 exec, exec, s[0:1]
	s_waitcnt vmcnt(0) lgkmcnt(0)
	s_setpc_b64 s[30:31]
.LBB7_3:
	v_cmp_gt_u32_e32 vcc, 2, v5
	s_and_saveexec_b64 s[0:1], vcc
	s_xor_b64 s[4:5], exec, s[0:1]
	s_cbranch_execz .LBB7_7
; %bb.4:
	v_cmp_eq_u32_e32 vcc, 1, v5
	v_cmp_eq_u32_e64 s[0:1], 0, v6
	s_and_b64 s[6:7], vcc, s[0:1]
	s_and_saveexec_b64 s[0:1], s[6:7]
	s_cbranch_execz .LBB7_6
; %bb.5:
	v_mov_b32_e32 v5, 0
	v_lshlrev_b64 v[4:5], 3, v[4:5]
	v_lshl_add_u64 v[0:1], v[0:1], 0, v[4:5]
	flat_load_dwordx2 v[0:1], v[0:1]
	v_lshl_add_u64 v[2:3], v[2:3], 0, v[4:5]
	s_waitcnt vmcnt(0) lgkmcnt(0)
	flat_store_dwordx2 v[2:3], v[0:1]
.LBB7_6:
	s_or_b64 exec, exec, s[0:1]
                                        ; implicit-def: $vgpr6
                                        ; implicit-def: $vgpr5
                                        ; implicit-def: $vgpr4
                                        ; implicit-def: $vgpr2_vgpr3
                                        ; implicit-def: $vgpr0_vgpr1
.LBB7_7:
	s_andn2_saveexec_b64 s[0:1], s[4:5]
	s_cbranch_execz .LBB7_17
; %bb.8:
	s_movk_i32 s4, 0x100
	v_cmp_gt_u32_e32 vcc, s4, v6
	s_and_saveexec_b64 s[4:5], vcc
	s_cbranch_execz .LBB7_13
; %bb.9:
	v_mov_b32_e32 v7, 0x6c00
	v_lshl_add_u32 v7, v6, 3, v7
	s_mov_b64 s[6:7], 0
	v_mov_b32_e32 v8, 0xffe00000
	v_mov_b32_e32 v9, 0x41efffff
	;; [unrolled: 1-line block ×3, first 2 shown]
	s_movk_i32 s10, 0x7f
	v_mov_b32_e32 v14, v6
	s_branch .LBB7_11
.LBB7_10:                               ;   in Loop: Header=BB7_11 Depth=1
	s_or_b64 exec, exec, s[8:9]
	v_add_u32_e32 v10, 0x80, v14
	v_cmp_lt_u32_e32 vcc, s10, v14
	s_waitcnt vmcnt(0) lgkmcnt(0)
	ds_write_b64 v7, v[12:13]
	v_add_u32_e32 v7, 0x400, v7
	s_or_b64 s[6:7], vcc, s[6:7]
	v_mov_b32_e32 v14, v10
	s_andn2_b64 exec, exec, s[6:7]
	s_cbranch_execz .LBB7_13
.LBB7_11:                               ; =>This Inner Loop Header: Depth=1
	v_cmp_lt_u32_e32 vcc, v14, v5
	v_mov_b64_e32 v[12:13], v[8:9]
	s_and_saveexec_b64 s[8:9], vcc
	s_cbranch_execz .LBB7_10
; %bb.12:                               ;   in Loop: Header=BB7_11 Depth=1
	v_add_u32_e32 v10, v4, v14
	v_lshl_add_u64 v[12:13], v[10:11], 3, v[0:1]
	flat_load_dwordx2 v[12:13], v[12:13]
	s_branch .LBB7_10
.LBB7_13:
	s_or_b64 exec, exec, s[4:5]
	v_lshlrev_b32_e32 v0, 4, v6
	s_waitcnt lgkmcnt(0)
	s_barrier
	ds_read_b128 v[8:11], v0 offset:27648
	v_lshlrev_b32_e32 v7, 1, v6
	v_and_b32_e32 v1, 1, v6
	v_cmp_eq_u32_e32 vcc, 0, v1
	v_sub_u32_e32 v1, v7, v1
	s_waitcnt lgkmcnt(0)
	v_cvt_u32_f64_e32 v8, v[8:9]
	v_cvt_u32_f64_e32 v9, v[10:11]
	v_max_u32_e32 v10, v8, v9
	v_min_u32_e32 v11, v8, v9
	v_cndmask_b32_e32 v8, v10, v11, vcc
	v_cndmask_b32_e32 v10, v11, v10, vcc
	v_lshlrev_b32_e32 v1, 3, v1
	v_cvt_f64_u32_e32 v[8:9], v8
	v_cvt_f64_u32_e32 v[10:11], v10
	v_add_u32_e32 v1, 0x6800, v1
	ds_write_b128 v0, v[8:11] offset:27648
	s_waitcnt lgkmcnt(0)
	s_barrier
	ds_read2_b64 v[8:11], v1 offset0:128 offset1:130
	v_and_b32_e32 v12, 2, v6
	v_cmp_eq_u32_e32 vcc, 0, v12
	v_and_b32_e32 v14, 8, v6
	v_and_b32_e32 v16, 32, v6
	s_waitcnt lgkmcnt(0)
	v_cvt_u32_f64_e32 v8, v[8:9]
	v_cvt_u32_f64_e32 v9, v[10:11]
	v_max_u32_e32 v10, v8, v9
	v_min_u32_e32 v11, v8, v9
	v_cndmask_b32_e32 v8, v10, v11, vcc
	v_cndmask_b32_e32 v10, v11, v10, vcc
	v_cvt_f64_u32_e32 v[8:9], v8
	v_cvt_f64_u32_e32 v[10:11], v10
	ds_write2_b64 v1, v[8:9], v[10:11] offset0:128 offset1:130
	s_waitcnt lgkmcnt(0)
	s_barrier
	ds_read_b128 v[8:11], v0 offset:27648
	v_and_b32_e32 v17, 64, v6
	s_waitcnt lgkmcnt(0)
	v_cvt_u32_f64_e32 v8, v[8:9]
	v_cvt_u32_f64_e32 v9, v[10:11]
	v_max_u32_e32 v10, v8, v9
	v_min_u32_e32 v11, v8, v9
	v_cndmask_b32_e32 v8, v10, v11, vcc
	v_cndmask_b32_e32 v10, v11, v10, vcc
	v_cvt_f64_u32_e32 v[8:9], v8
	v_cvt_f64_u32_e32 v[10:11], v10
	ds_write_b128 v0, v[8:11] offset:27648
	v_and_b32_e32 v8, 3, v6
	v_sub_u32_e32 v8, v7, v8
	v_lshlrev_b32_e32 v8, 3, v8
	v_add_u32_e32 v8, 0x6800, v8
	s_waitcnt lgkmcnt(0)
	s_barrier
	ds_read2_b64 v[10:13], v8 offset0:128 offset1:132
	v_and_b32_e32 v9, 4, v6
	v_cmp_eq_u32_e32 vcc, 0, v9
	s_waitcnt lgkmcnt(0)
	v_cvt_u32_f64_e32 v10, v[10:11]
	v_cvt_u32_f64_e32 v11, v[12:13]
	v_max_u32_e32 v12, v10, v11
	v_min_u32_e32 v13, v10, v11
	v_cndmask_b32_e32 v9, v12, v13, vcc
	v_cvt_f64_u32_e32 v[10:11], v9
	v_cndmask_b32_e32 v9, v13, v12, vcc
	v_cvt_f64_u32_e32 v[12:13], v9
	ds_write2_b64 v8, v[10:11], v[12:13] offset0:128 offset1:132
	s_waitcnt lgkmcnt(0)
	s_barrier
	ds_read2_b64 v[10:13], v1 offset0:128 offset1:130
	s_waitcnt lgkmcnt(0)
	v_cvt_u32_f64_e32 v9, v[10:11]
	v_cvt_u32_f64_e32 v10, v[12:13]
	v_max_u32_e32 v12, v9, v10
	v_min_u32_e32 v9, v9, v10
	v_cndmask_b32_e32 v10, v12, v9, vcc
	v_cndmask_b32_e32 v9, v9, v12, vcc
	v_cvt_f64_u32_e32 v[10:11], v10
	v_cvt_f64_u32_e32 v[12:13], v9
	ds_write2_b64 v1, v[10:11], v[12:13] offset0:128 offset1:130
	s_waitcnt lgkmcnt(0)
	s_barrier
	ds_read_b128 v[10:13], v0 offset:27648
	s_waitcnt lgkmcnt(0)
	v_cvt_u32_f64_e32 v9, v[10:11]
	v_cvt_u32_f64_e32 v10, v[12:13]
	v_max_u32_e32 v12, v9, v10
	v_min_u32_e32 v9, v9, v10
	v_cndmask_b32_e32 v10, v12, v9, vcc
	v_cndmask_b32_e32 v9, v9, v12, vcc
	v_cvt_f64_u32_e32 v[12:13], v9
	v_and_b32_e32 v9, 7, v6
	v_sub_u32_e32 v9, v7, v9
	v_lshlrev_b32_e32 v9, 3, v9
	v_cvt_f64_u32_e32 v[10:11], v10
	v_add_u32_e32 v9, 0x6800, v9
	ds_write_b128 v0, v[10:13] offset:27648
	s_waitcnt lgkmcnt(0)
	s_barrier
	ds_read2_b64 v[10:13], v9 offset0:128 offset1:136
	v_cmp_eq_u32_e32 vcc, 0, v14
	s_waitcnt lgkmcnt(0)
	v_cvt_u32_f64_e32 v10, v[10:11]
	v_cvt_u32_f64_e32 v11, v[12:13]
	v_max_u32_e32 v12, v10, v11
	v_min_u32_e32 v13, v10, v11
	v_cndmask_b32_e32 v10, v12, v13, vcc
	v_cndmask_b32_e32 v12, v13, v12, vcc
	v_cvt_f64_u32_e32 v[10:11], v10
	v_cvt_f64_u32_e32 v[12:13], v12
	ds_write2_b64 v9, v[10:11], v[12:13] offset0:128 offset1:136
	s_waitcnt lgkmcnt(0)
	s_barrier
	ds_read2_b64 v[10:13], v8 offset0:128 offset1:132
	s_waitcnt lgkmcnt(0)
	v_cvt_u32_f64_e32 v10, v[10:11]
	v_cvt_u32_f64_e32 v11, v[12:13]
	v_max_u32_e32 v12, v10, v11
	v_min_u32_e32 v13, v10, v11
	v_cndmask_b32_e32 v10, v12, v13, vcc
	v_cndmask_b32_e32 v12, v13, v12, vcc
	v_cvt_f64_u32_e32 v[10:11], v10
	v_cvt_f64_u32_e32 v[12:13], v12
	ds_write2_b64 v8, v[10:11], v[12:13] offset0:128 offset1:132
	s_waitcnt lgkmcnt(0)
	s_barrier
	ds_read2_b64 v[10:13], v1 offset0:128 offset1:130
	s_waitcnt lgkmcnt(0)
	v_cvt_u32_f64_e32 v10, v[10:11]
	v_cvt_u32_f64_e32 v11, v[12:13]
	v_max_u32_e32 v12, v10, v11
	v_min_u32_e32 v13, v10, v11
	v_cndmask_b32_e32 v10, v12, v13, vcc
	v_cndmask_b32_e32 v12, v13, v12, vcc
	v_cvt_f64_u32_e32 v[10:11], v10
	v_cvt_f64_u32_e32 v[12:13], v12
	ds_write2_b64 v1, v[10:11], v[12:13] offset0:128 offset1:130
	s_waitcnt lgkmcnt(0)
	s_barrier
	ds_read_b128 v[10:13], v0 offset:27648
	s_waitcnt lgkmcnt(0)
	v_cvt_u32_f64_e32 v10, v[10:11]
	v_cvt_u32_f64_e32 v11, v[12:13]
	v_max_u32_e32 v12, v10, v11
	v_min_u32_e32 v13, v10, v11
	v_cndmask_b32_e32 v10, v12, v13, vcc
	v_cndmask_b32_e32 v12, v13, v12, vcc
	v_cvt_f64_u32_e32 v[10:11], v10
	v_cvt_f64_u32_e32 v[12:13], v12
	ds_write_b128 v0, v[10:13] offset:27648
	v_and_b32_e32 v10, 15, v6
	v_sub_u32_e32 v10, v7, v10
	v_lshlrev_b32_e32 v10, 3, v10
	v_add_u32_e32 v10, 0x6800, v10
	s_waitcnt lgkmcnt(0)
	s_barrier
	ds_read2_b64 v[12:15], v10 offset0:128 offset1:144
	v_and_b32_e32 v11, 16, v6
	v_cmp_eq_u32_e32 vcc, 0, v11
	s_waitcnt lgkmcnt(0)
	v_cvt_u32_f64_e32 v12, v[12:13]
	v_cvt_u32_f64_e32 v13, v[14:15]
	v_max_u32_e32 v14, v12, v13
	v_min_u32_e32 v15, v12, v13
	v_cndmask_b32_e32 v11, v14, v15, vcc
	v_cvt_f64_u32_e32 v[12:13], v11
	v_cndmask_b32_e32 v11, v15, v14, vcc
	v_cvt_f64_u32_e32 v[14:15], v11
	ds_write2_b64 v10, v[12:13], v[14:15] offset0:128 offset1:144
	s_waitcnt lgkmcnt(0)
	s_barrier
	ds_read2_b64 v[12:15], v9 offset0:128 offset1:136
	s_waitcnt lgkmcnt(0)
	v_cvt_u32_f64_e32 v11, v[12:13]
	v_cvt_u32_f64_e32 v12, v[14:15]
	v_max_u32_e32 v14, v11, v12
	v_min_u32_e32 v11, v11, v12
	v_cndmask_b32_e32 v12, v14, v11, vcc
	v_cndmask_b32_e32 v11, v11, v14, vcc
	v_cvt_f64_u32_e32 v[12:13], v12
	v_cvt_f64_u32_e32 v[14:15], v11
	ds_write2_b64 v9, v[12:13], v[14:15] offset0:128 offset1:136
	s_waitcnt lgkmcnt(0)
	s_barrier
	ds_read2_b64 v[12:15], v8 offset0:128 offset1:132
	s_waitcnt lgkmcnt(0)
	v_cvt_u32_f64_e32 v11, v[12:13]
	v_cvt_u32_f64_e32 v12, v[14:15]
	v_max_u32_e32 v14, v11, v12
	v_min_u32_e32 v11, v11, v12
	v_cndmask_b32_e32 v12, v14, v11, vcc
	v_cndmask_b32_e32 v11, v11, v14, vcc
	v_cvt_f64_u32_e32 v[12:13], v12
	;; [unrolled: 13-line block ×3, first 2 shown]
	v_cvt_f64_u32_e32 v[14:15], v11
	ds_write2_b64 v1, v[12:13], v[14:15] offset0:128 offset1:130
	s_waitcnt lgkmcnt(0)
	s_barrier
	ds_read_b128 v[12:15], v0 offset:27648
	s_waitcnt lgkmcnt(0)
	v_cvt_u32_f64_e32 v11, v[12:13]
	v_cvt_u32_f64_e32 v12, v[14:15]
	v_max_u32_e32 v14, v11, v12
	v_min_u32_e32 v11, v11, v12
	v_cndmask_b32_e32 v12, v14, v11, vcc
	v_cndmask_b32_e32 v11, v11, v14, vcc
	v_cvt_f64_u32_e32 v[14:15], v11
	v_and_b32_e32 v11, 31, v6
	v_sub_u32_e32 v11, v7, v11
	v_lshlrev_b32_e32 v11, 3, v11
	v_cvt_f64_u32_e32 v[12:13], v12
	v_add_u32_e32 v11, 0x6800, v11
	ds_write_b128 v0, v[12:15] offset:27648
	s_waitcnt lgkmcnt(0)
	s_barrier
	ds_read2_b64 v[12:15], v11 offset0:128 offset1:160
	v_cmp_eq_u32_e32 vcc, 0, v16
	s_waitcnt lgkmcnt(0)
	v_cvt_u32_f64_e32 v12, v[12:13]
	v_cvt_u32_f64_e32 v13, v[14:15]
	v_max_u32_e32 v14, v12, v13
	v_min_u32_e32 v15, v12, v13
	v_cndmask_b32_e32 v12, v14, v15, vcc
	v_cndmask_b32_e32 v14, v15, v14, vcc
	v_cvt_f64_u32_e32 v[12:13], v12
	v_cvt_f64_u32_e32 v[14:15], v14
	ds_write2_b64 v11, v[12:13], v[14:15] offset0:128 offset1:160
	s_waitcnt lgkmcnt(0)
	s_barrier
	ds_read2_b64 v[12:15], v10 offset0:128 offset1:144
	s_waitcnt lgkmcnt(0)
	v_cvt_u32_f64_e32 v12, v[12:13]
	v_cvt_u32_f64_e32 v13, v[14:15]
	v_max_u32_e32 v14, v12, v13
	v_min_u32_e32 v15, v12, v13
	v_cndmask_b32_e32 v12, v14, v15, vcc
	v_cndmask_b32_e32 v14, v15, v14, vcc
	v_cvt_f64_u32_e32 v[12:13], v12
	v_cvt_f64_u32_e32 v[14:15], v14
	ds_write2_b64 v10, v[12:13], v[14:15] offset0:128 offset1:144
	s_waitcnt lgkmcnt(0)
	s_barrier
	ds_read2_b64 v[12:15], v9 offset0:128 offset1:136
	;; [unrolled: 13-line block ×4, first 2 shown]
	s_waitcnt lgkmcnt(0)
	v_cvt_u32_f64_e32 v12, v[12:13]
	v_cvt_u32_f64_e32 v13, v[14:15]
	v_max_u32_e32 v14, v12, v13
	v_min_u32_e32 v15, v12, v13
	v_cndmask_b32_e32 v12, v14, v15, vcc
	v_cndmask_b32_e32 v14, v15, v14, vcc
	v_cvt_f64_u32_e32 v[12:13], v12
	v_cvt_f64_u32_e32 v[14:15], v14
	ds_write2_b64 v1, v[12:13], v[14:15] offset0:128 offset1:130
	s_waitcnt lgkmcnt(0)
	s_barrier
	ds_read_b128 v[12:15], v0 offset:27648
	s_waitcnt lgkmcnt(0)
	v_cvt_u32_f64_e32 v12, v[12:13]
	v_cvt_u32_f64_e32 v13, v[14:15]
	v_max_u32_e32 v14, v12, v13
	v_min_u32_e32 v15, v12, v13
	v_cndmask_b32_e32 v12, v14, v15, vcc
	v_cndmask_b32_e32 v14, v15, v14, vcc
	v_cvt_f64_u32_e32 v[12:13], v12
	v_cvt_f64_u32_e32 v[14:15], v14
	ds_write_b128 v0, v[12:15] offset:27648
	v_and_b32_e32 v12, 63, v6
	v_sub_u32_e32 v12, v7, v12
	v_lshlrev_b32_e32 v16, 3, v12
	s_waitcnt lgkmcnt(0)
	s_barrier
	ds_read2st64_b64 v[12:15], v16 offset0:54 offset1:55
	v_cmp_eq_u32_e32 vcc, 0, v17
	s_waitcnt lgkmcnt(0)
	v_cvt_u32_f64_e32 v12, v[12:13]
	v_cvt_u32_f64_e32 v13, v[14:15]
	v_max_u32_e32 v14, v12, v13
	v_min_u32_e32 v15, v12, v13
	v_cndmask_b32_e32 v12, v14, v15, vcc
	v_cndmask_b32_e32 v14, v15, v14, vcc
	v_cvt_f64_u32_e32 v[12:13], v12
	v_cvt_f64_u32_e32 v[14:15], v14
	ds_write2st64_b64 v16, v[12:13], v[14:15] offset0:54 offset1:55
	s_waitcnt lgkmcnt(0)
	s_barrier
	ds_read2_b64 v[12:15], v11 offset0:128 offset1:160
	s_waitcnt lgkmcnt(0)
	v_cvt_u32_f64_e32 v12, v[12:13]
	v_cvt_u32_f64_e32 v13, v[14:15]
	v_max_u32_e32 v14, v12, v13
	v_min_u32_e32 v15, v12, v13
	v_cndmask_b32_e32 v12, v14, v15, vcc
	v_cndmask_b32_e32 v14, v15, v14, vcc
	v_cvt_f64_u32_e32 v[12:13], v12
	v_cvt_f64_u32_e32 v[14:15], v14
	ds_write2_b64 v11, v[12:13], v[14:15] offset0:128 offset1:160
	s_waitcnt lgkmcnt(0)
	s_barrier
	ds_read2_b64 v[12:15], v10 offset0:128 offset1:144
	s_waitcnt lgkmcnt(0)
	v_cvt_u32_f64_e32 v12, v[12:13]
	v_cvt_u32_f64_e32 v13, v[14:15]
	v_max_u32_e32 v14, v12, v13
	v_min_u32_e32 v15, v12, v13
	v_cndmask_b32_e32 v12, v14, v15, vcc
	v_cndmask_b32_e32 v14, v15, v14, vcc
	v_cvt_f64_u32_e32 v[12:13], v12
	v_cvt_f64_u32_e32 v[14:15], v14
	ds_write2_b64 v10, v[12:13], v[14:15] offset0:128 offset1:144
	;; [unrolled: 13-line block ×5, first 2 shown]
	s_waitcnt lgkmcnt(0)
	s_barrier
	ds_read_b128 v[12:15], v0 offset:27648
	s_waitcnt lgkmcnt(0)
	v_cvt_u32_f64_e32 v12, v[12:13]
	v_cvt_u32_f64_e32 v13, v[14:15]
	v_max_u32_e32 v14, v12, v13
	v_min_u32_e32 v15, v12, v13
	v_cndmask_b32_e32 v12, v14, v15, vcc
	v_cndmask_b32_e32 v14, v15, v14, vcc
	v_cvt_f64_u32_e32 v[12:13], v12
	v_cvt_f64_u32_e32 v[14:15], v14
	ds_write_b128 v0, v[12:15] offset:27648
	v_and_b32_e32 v12, 0x7f, v6
	v_sub_u32_e32 v7, v7, v12
	v_lshlrev_b32_e32 v7, 3, v7
	s_waitcnt lgkmcnt(0)
	s_barrier
	ds_read2st64_b64 v[12:15], v7 offset0:54 offset1:56
	v_cmp_lt_u32_e32 vcc, v6, v5
	s_waitcnt lgkmcnt(0)
	v_cvt_u32_f64_e32 v17, v[12:13]
	v_cvt_u32_f64_e32 v14, v[14:15]
	v_min_u32_e32 v12, v17, v14
	v_max_u32_e32 v14, v17, v14
	v_cvt_f64_u32_e32 v[12:13], v12
	v_cvt_f64_u32_e32 v[14:15], v14
	ds_write2st64_b64 v7, v[12:13], v[14:15] offset0:54 offset1:56
	s_waitcnt lgkmcnt(0)
	s_barrier
	ds_read2st64_b64 v[12:15], v16 offset0:54 offset1:55
	s_waitcnt lgkmcnt(0)
	v_cvt_u32_f64_e32 v7, v[12:13]
	v_cvt_u32_f64_e32 v14, v[14:15]
	v_min_u32_e32 v12, v7, v14
	v_max_u32_e32 v7, v7, v14
	v_cvt_f64_u32_e32 v[12:13], v12
	v_cvt_f64_u32_e32 v[14:15], v7
	ds_write2st64_b64 v16, v[12:13], v[14:15] offset0:54 offset1:55
	s_waitcnt lgkmcnt(0)
	s_barrier
	ds_read2_b64 v[12:15], v11 offset0:128 offset1:160
	s_waitcnt lgkmcnt(0)
	v_cvt_u32_f64_e32 v7, v[12:13]
	v_cvt_u32_f64_e32 v14, v[14:15]
	v_min_u32_e32 v12, v7, v14
	v_max_u32_e32 v7, v7, v14
	v_cvt_f64_u32_e32 v[12:13], v12
	v_cvt_f64_u32_e32 v[14:15], v7
	ds_write2_b64 v11, v[12:13], v[14:15] offset0:128 offset1:160
	s_waitcnt lgkmcnt(0)
	s_barrier
	ds_read2_b64 v[12:15], v10 offset0:128 offset1:144
	s_waitcnt lgkmcnt(0)
	v_cvt_u32_f64_e32 v7, v[12:13]
	v_cvt_u32_f64_e32 v11, v[14:15]
	v_min_u32_e32 v12, v7, v11
	v_max_u32_e32 v7, v7, v11
	v_cvt_f64_u32_e32 v[12:13], v12
	v_cvt_f64_u32_e32 v[14:15], v7
	ds_write2_b64 v10, v[12:13], v[14:15] offset0:128 offset1:144
	;; [unrolled: 11-line block ×5, first 2 shown]
	s_waitcnt lgkmcnt(0)
	s_barrier
	ds_read_b128 v[8:11], v0 offset:27648
	s_waitcnt lgkmcnt(0)
	v_cvt_u32_f64_e32 v1, v[8:9]
	v_cvt_u32_f64_e32 v7, v[10:11]
	v_min_u32_e32 v8, v1, v7
	v_max_u32_e32 v1, v1, v7
	v_cvt_f64_u32_e32 v[8:9], v8
	v_cvt_f64_u32_e32 v[10:11], v1
	ds_write_b128 v0, v[8:11] offset:27648
	s_waitcnt lgkmcnt(0)
	s_barrier
	s_and_saveexec_b64 s[4:5], vcc
	s_cbranch_execz .LBB7_16
; %bb.14:
	v_mov_b32_e32 v0, 0x6c00
	v_lshl_add_u32 v7, v6, 3, v0
	s_mov_b64 s[6:7], 0
	v_mov_b32_e32 v1, 0
.LBB7_15:                               ; =>This Inner Loop Header: Depth=1
	ds_read_b64 v[8:9], v7
	v_add_u32_e32 v0, v4, v6
	v_add_u32_e32 v6, 0x80, v6
	v_cmp_ge_u32_e32 vcc, v6, v5
	v_add_u32_e32 v7, 0x400, v7
	v_lshl_add_u64 v[10:11], v[0:1], 3, v[2:3]
	s_or_b64 s[6:7], vcc, s[6:7]
	s_waitcnt lgkmcnt(0)
	flat_store_dwordx2 v[10:11], v[8:9]
	s_andn2_b64 exec, exec, s[6:7]
	s_cbranch_execnz .LBB7_15
.LBB7_16:
	s_or_b64 exec, exec, s[4:5]
.LBB7_17:
	s_or_b64 exec, exec, s[0:1]
                                        ; implicit-def: $vgpr4
                                        ; implicit-def: $vgpr0_vgpr1
                                        ; implicit-def: $vgpr6
                                        ; implicit-def: $vgpr2_vgpr3
	s_andn2_saveexec_b64 s[0:1], s[2:3]
	s_cbranch_execz .LBB7_2
.LBB7_18:
	v_mov_b32_e32 v9, 0
	v_mov_b32_e32 v5, v9
	v_lshl_add_u64 v[18:19], v[4:5], 3, v[0:1]
	v_lshlrev_b32_e32 v8, 1, v6
	v_lshl_add_u64 v[10:11], v[8:9], 3, v[18:19]
	flat_load_dwordx4 v[20:23], v[10:11]
	v_and_b32_e32 v5, 1, v6
	v_cmp_eq_u32_e32 vcc, 0, v5
	v_sub_u32_e32 v14, v8, v5
	v_mov_b32_e32 v15, v9
	v_lshl_add_u64 v[12:13], v[14:15], 3, v[18:19]
	v_ashrrev_i32_e32 v15, 31, v14
	v_lshl_add_u64 v[14:15], v[14:15], 3, v[18:19]
	s_movk_i32 s2, 0x100
	s_movk_i32 s6, 0x7f
	s_waitcnt vmcnt(0) lgkmcnt(0)
	v_cvt_u32_f64_e32 v7, v[20:21]
	v_cvt_u32_f64_e32 v16, v[22:23]
	v_max_u32_e32 v17, v7, v16
	v_min_u32_e32 v7, v7, v16
	v_cndmask_b32_e32 v5, v17, v7, vcc
	v_cndmask_b32_e32 v7, v7, v17, vcc
	v_cvt_f64_u32_e32 v[20:21], v5
	v_cvt_f64_u32_e32 v[22:23], v7
	flat_store_dwordx4 v[10:11], v[20:23]
	s_waitcnt lgkmcnt(0)
	s_barrier
	flat_load_dwordx2 v[16:17], v[12:13]
	flat_load_dwordx2 v[20:21], v[14:15] offset:16
	v_and_b32_e32 v5, 2, v6
	v_cmp_eq_u32_e32 vcc, 0, v5
	s_waitcnt vmcnt(0) lgkmcnt(0)
	v_cvt_u32_f64_e32 v7, v[16:17]
	v_cvt_u32_f64_e32 v16, v[20:21]
	v_max_u32_e32 v17, v7, v16
	v_min_u32_e32 v7, v7, v16
	v_cndmask_b32_e32 v5, v17, v7, vcc
	v_cndmask_b32_e32 v7, v7, v17, vcc
	v_cvt_f64_u32_e32 v[16:17], v5
	v_cvt_f64_u32_e32 v[20:21], v7
	flat_store_dwordx2 v[12:13], v[16:17]
	flat_store_dwordx2 v[14:15], v[20:21] offset:16
	s_waitcnt lgkmcnt(0)
	s_barrier
	flat_load_dwordx4 v[22:25], v[10:11]
	v_and_b32_e32 v5, 3, v6
	v_sub_u32_e32 v20, v8, v5
	v_mov_b32_e32 v21, v9
	v_lshl_add_u64 v[16:17], v[20:21], 3, v[18:19]
	v_ashrrev_i32_e32 v21, 31, v20
	v_lshl_add_u64 v[20:21], v[20:21], 3, v[18:19]
	s_waitcnt vmcnt(0) lgkmcnt(0)
	v_cvt_u32_f64_e32 v5, v[22:23]
	v_cvt_u32_f64_e32 v7, v[24:25]
	v_max_u32_e32 v22, v5, v7
	v_min_u32_e32 v5, v5, v7
	v_cndmask_b32_e32 v7, v22, v5, vcc
	v_cndmask_b32_e32 v5, v5, v22, vcc
	v_cvt_f64_u32_e32 v[22:23], v7
	v_cvt_f64_u32_e32 v[24:25], v5
	flat_store_dwordx4 v[10:11], v[22:25]
	s_waitcnt lgkmcnt(0)
	s_barrier
	flat_load_dwordx2 v[22:23], v[16:17]
	flat_load_dwordx2 v[24:25], v[20:21] offset:32
	v_and_b32_e32 v5, 4, v6
	v_cmp_eq_u32_e32 vcc, 0, v5
	s_waitcnt vmcnt(0) lgkmcnt(0)
	v_cvt_u32_f64_e32 v7, v[22:23]
	v_cvt_u32_f64_e32 v22, v[24:25]
	v_max_u32_e32 v23, v7, v22
	v_min_u32_e32 v7, v7, v22
	v_cndmask_b32_e32 v5, v23, v7, vcc
	v_cndmask_b32_e32 v7, v7, v23, vcc
	v_cvt_f64_u32_e32 v[22:23], v5
	v_cvt_f64_u32_e32 v[24:25], v7
	flat_store_dwordx2 v[16:17], v[22:23]
	flat_store_dwordx2 v[20:21], v[24:25] offset:32
	s_waitcnt lgkmcnt(0)
	s_barrier
	flat_load_dwordx2 v[22:23], v[12:13]
	flat_load_dwordx2 v[24:25], v[14:15] offset:16
	s_waitcnt vmcnt(0) lgkmcnt(0)
	v_cvt_u32_f64_e32 v5, v[22:23]
	v_cvt_u32_f64_e32 v7, v[24:25]
	v_max_u32_e32 v22, v5, v7
	v_min_u32_e32 v5, v5, v7
	v_cndmask_b32_e32 v7, v22, v5, vcc
	v_cndmask_b32_e32 v5, v5, v22, vcc
	v_cvt_f64_u32_e32 v[22:23], v7
	v_cvt_f64_u32_e32 v[24:25], v5
	flat_store_dwordx2 v[12:13], v[22:23]
	flat_store_dwordx2 v[14:15], v[24:25] offset:16
	s_waitcnt lgkmcnt(0)
	s_barrier
	flat_load_dwordx4 v[26:29], v[10:11]
	v_and_b32_e32 v5, 7, v6
	v_sub_u32_e32 v24, v8, v5
	v_mov_b32_e32 v25, v9
	v_lshl_add_u64 v[22:23], v[24:25], 3, v[18:19]
	v_ashrrev_i32_e32 v25, 31, v24
	v_lshl_add_u64 v[24:25], v[24:25], 3, v[18:19]
	s_waitcnt vmcnt(0) lgkmcnt(0)
	v_cvt_u32_f64_e32 v5, v[26:27]
	v_cvt_u32_f64_e32 v7, v[28:29]
	v_max_u32_e32 v26, v5, v7
	v_min_u32_e32 v5, v5, v7
	v_cndmask_b32_e32 v7, v26, v5, vcc
	v_cndmask_b32_e32 v5, v5, v26, vcc
	v_cvt_f64_u32_e32 v[26:27], v7
	v_cvt_f64_u32_e32 v[28:29], v5
	flat_store_dwordx4 v[10:11], v[26:29]
	s_waitcnt lgkmcnt(0)
	s_barrier
	flat_load_dwordx2 v[26:27], v[22:23]
	flat_load_dwordx2 v[28:29], v[24:25] offset:64
	v_and_b32_e32 v5, 8, v6
	v_cmp_eq_u32_e32 vcc, 0, v5
	s_waitcnt vmcnt(0) lgkmcnt(0)
	v_cvt_u32_f64_e32 v7, v[26:27]
	v_cvt_u32_f64_e32 v26, v[28:29]
	v_max_u32_e32 v27, v7, v26
	v_min_u32_e32 v7, v7, v26
	v_cndmask_b32_e32 v5, v27, v7, vcc
	v_cndmask_b32_e32 v7, v7, v27, vcc
	v_cvt_f64_u32_e32 v[26:27], v5
	v_cvt_f64_u32_e32 v[28:29], v7
	flat_store_dwordx2 v[22:23], v[26:27]
	flat_store_dwordx2 v[24:25], v[28:29] offset:64
	s_waitcnt lgkmcnt(0)
	s_barrier
	flat_load_dwordx2 v[26:27], v[16:17]
	flat_load_dwordx2 v[28:29], v[20:21] offset:32
	s_waitcnt vmcnt(0) lgkmcnt(0)
	v_cvt_u32_f64_e32 v5, v[26:27]
	v_cvt_u32_f64_e32 v7, v[28:29]
	v_max_u32_e32 v26, v5, v7
	v_min_u32_e32 v5, v5, v7
	v_cndmask_b32_e32 v7, v26, v5, vcc
	v_cndmask_b32_e32 v5, v5, v26, vcc
	v_cvt_f64_u32_e32 v[26:27], v7
	v_cvt_f64_u32_e32 v[28:29], v5
	flat_store_dwordx2 v[16:17], v[26:27]
	flat_store_dwordx2 v[20:21], v[28:29] offset:32
	s_waitcnt lgkmcnt(0)
	s_barrier
	flat_load_dwordx2 v[26:27], v[12:13]
	flat_load_dwordx2 v[28:29], v[14:15] offset:16
	s_waitcnt vmcnt(0) lgkmcnt(0)
	v_cvt_u32_f64_e32 v5, v[26:27]
	v_cvt_u32_f64_e32 v7, v[28:29]
	v_max_u32_e32 v26, v5, v7
	v_min_u32_e32 v5, v5, v7
	v_cndmask_b32_e32 v7, v26, v5, vcc
	v_cndmask_b32_e32 v5, v5, v26, vcc
	v_cvt_f64_u32_e32 v[26:27], v7
	v_cvt_f64_u32_e32 v[28:29], v5
	flat_store_dwordx2 v[12:13], v[26:27]
	flat_store_dwordx2 v[14:15], v[28:29] offset:16
	s_waitcnt lgkmcnt(0)
	s_barrier
	flat_load_dwordx4 v[30:33], v[10:11]
	v_and_b32_e32 v5, 15, v6
	v_sub_u32_e32 v28, v8, v5
	v_mov_b32_e32 v29, v9
	v_lshl_add_u64 v[26:27], v[28:29], 3, v[18:19]
	v_ashrrev_i32_e32 v29, 31, v28
	v_lshl_add_u64 v[28:29], v[28:29], 3, v[18:19]
	s_waitcnt vmcnt(0) lgkmcnt(0)
	v_cvt_u32_f64_e32 v5, v[30:31]
	v_cvt_u32_f64_e32 v7, v[32:33]
	v_max_u32_e32 v30, v5, v7
	v_min_u32_e32 v5, v5, v7
	v_cndmask_b32_e32 v7, v30, v5, vcc
	v_cndmask_b32_e32 v5, v5, v30, vcc
	v_cvt_f64_u32_e32 v[30:31], v7
	v_cvt_f64_u32_e32 v[32:33], v5
	flat_store_dwordx4 v[10:11], v[30:33]
	s_waitcnt lgkmcnt(0)
	s_barrier
	flat_load_dwordx2 v[30:31], v[26:27]
	flat_load_dwordx2 v[32:33], v[28:29] offset:128
	v_and_b32_e32 v5, 16, v6
	v_cmp_eq_u32_e32 vcc, 0, v5
	s_waitcnt vmcnt(0) lgkmcnt(0)
	v_cvt_u32_f64_e32 v7, v[30:31]
	v_cvt_u32_f64_e32 v30, v[32:33]
	v_max_u32_e32 v31, v7, v30
	v_min_u32_e32 v7, v7, v30
	v_cndmask_b32_e32 v5, v31, v7, vcc
	v_cndmask_b32_e32 v7, v7, v31, vcc
	v_cvt_f64_u32_e32 v[30:31], v5
	v_cvt_f64_u32_e32 v[32:33], v7
	flat_store_dwordx2 v[26:27], v[30:31]
	flat_store_dwordx2 v[28:29], v[32:33] offset:128
	s_waitcnt lgkmcnt(0)
	s_barrier
	flat_load_dwordx2 v[30:31], v[22:23]
	flat_load_dwordx2 v[32:33], v[24:25] offset:64
	s_waitcnt vmcnt(0) lgkmcnt(0)
	v_cvt_u32_f64_e32 v5, v[30:31]
	v_cvt_u32_f64_e32 v7, v[32:33]
	v_max_u32_e32 v30, v5, v7
	v_min_u32_e32 v5, v5, v7
	v_cndmask_b32_e32 v7, v30, v5, vcc
	v_cndmask_b32_e32 v5, v5, v30, vcc
	v_cvt_f64_u32_e32 v[30:31], v7
	v_cvt_f64_u32_e32 v[32:33], v5
	flat_store_dwordx2 v[22:23], v[30:31]
	flat_store_dwordx2 v[24:25], v[32:33] offset:64
	s_waitcnt lgkmcnt(0)
	s_barrier
	flat_load_dwordx2 v[30:31], v[16:17]
	flat_load_dwordx2 v[32:33], v[20:21] offset:32
	;; [unrolled: 15-line block ×3, first 2 shown]
	s_waitcnt vmcnt(0) lgkmcnt(0)
	v_cvt_u32_f64_e32 v5, v[30:31]
	v_cvt_u32_f64_e32 v7, v[32:33]
	v_max_u32_e32 v30, v5, v7
	v_min_u32_e32 v5, v5, v7
	v_cndmask_b32_e32 v7, v30, v5, vcc
	v_cndmask_b32_e32 v5, v5, v30, vcc
	v_cvt_f64_u32_e32 v[30:31], v7
	v_cvt_f64_u32_e32 v[32:33], v5
	flat_store_dwordx2 v[12:13], v[30:31]
	flat_store_dwordx2 v[14:15], v[32:33] offset:16
	s_waitcnt lgkmcnt(0)
	s_barrier
	flat_load_dwordx4 v[34:37], v[10:11]
	v_and_b32_e32 v5, 31, v6
	v_sub_u32_e32 v32, v8, v5
	v_mov_b32_e32 v33, v9
	v_lshl_add_u64 v[30:31], v[32:33], 3, v[18:19]
	v_ashrrev_i32_e32 v33, 31, v32
	v_lshl_add_u64 v[32:33], v[32:33], 3, v[18:19]
	s_waitcnt vmcnt(0) lgkmcnt(0)
	v_cvt_u32_f64_e32 v5, v[34:35]
	v_cvt_u32_f64_e32 v7, v[36:37]
	v_max_u32_e32 v34, v5, v7
	v_min_u32_e32 v5, v5, v7
	v_cndmask_b32_e32 v7, v34, v5, vcc
	v_cndmask_b32_e32 v5, v5, v34, vcc
	v_cvt_f64_u32_e32 v[34:35], v7
	v_cvt_f64_u32_e32 v[36:37], v5
	flat_store_dwordx4 v[10:11], v[34:37]
	s_waitcnt lgkmcnt(0)
	s_barrier
	flat_load_dwordx2 v[34:35], v[30:31]
	flat_load_dwordx2 v[36:37], v[32:33] offset:256
	v_and_b32_e32 v5, 32, v6
	v_cmp_eq_u32_e32 vcc, 0, v5
	s_waitcnt vmcnt(0) lgkmcnt(0)
	v_cvt_u32_f64_e32 v7, v[34:35]
	v_cvt_u32_f64_e32 v34, v[36:37]
	v_max_u32_e32 v35, v7, v34
	v_min_u32_e32 v7, v7, v34
	v_cndmask_b32_e32 v5, v35, v7, vcc
	v_cndmask_b32_e32 v7, v7, v35, vcc
	v_cvt_f64_u32_e32 v[34:35], v5
	v_cvt_f64_u32_e32 v[36:37], v7
	flat_store_dwordx2 v[30:31], v[34:35]
	flat_store_dwordx2 v[32:33], v[36:37] offset:256
	s_waitcnt lgkmcnt(0)
	s_barrier
	flat_load_dwordx2 v[34:35], v[26:27]
	flat_load_dwordx2 v[36:37], v[28:29] offset:128
	s_waitcnt vmcnt(0) lgkmcnt(0)
	v_cvt_u32_f64_e32 v5, v[34:35]
	v_cvt_u32_f64_e32 v7, v[36:37]
	v_max_u32_e32 v34, v5, v7
	v_min_u32_e32 v5, v5, v7
	v_cndmask_b32_e32 v7, v34, v5, vcc
	v_cndmask_b32_e32 v5, v5, v34, vcc
	v_cvt_f64_u32_e32 v[34:35], v7
	v_cvt_f64_u32_e32 v[36:37], v5
	flat_store_dwordx2 v[26:27], v[34:35]
	flat_store_dwordx2 v[28:29], v[36:37] offset:128
	s_waitcnt lgkmcnt(0)
	s_barrier
	flat_load_dwordx2 v[34:35], v[22:23]
	flat_load_dwordx2 v[36:37], v[24:25] offset:64
	s_waitcnt vmcnt(0) lgkmcnt(0)
	v_cvt_u32_f64_e32 v5, v[34:35]
	v_cvt_u32_f64_e32 v7, v[36:37]
	v_max_u32_e32 v34, v5, v7
	v_min_u32_e32 v5, v5, v7
	v_cndmask_b32_e32 v7, v34, v5, vcc
	v_cndmask_b32_e32 v5, v5, v34, vcc
	v_cvt_f64_u32_e32 v[34:35], v7
	v_cvt_f64_u32_e32 v[36:37], v5
	flat_store_dwordx2 v[22:23], v[34:35]
	flat_store_dwordx2 v[24:25], v[36:37] offset:64
	s_waitcnt lgkmcnt(0)
	s_barrier
	flat_load_dwordx2 v[34:35], v[16:17]
	flat_load_dwordx2 v[36:37], v[20:21] offset:32
	s_waitcnt vmcnt(0) lgkmcnt(0)
	v_cvt_u32_f64_e32 v5, v[34:35]
	v_cvt_u32_f64_e32 v7, v[36:37]
	v_max_u32_e32 v34, v5, v7
	v_min_u32_e32 v5, v5, v7
	v_cndmask_b32_e32 v7, v34, v5, vcc
	v_cndmask_b32_e32 v5, v5, v34, vcc
	v_cvt_f64_u32_e32 v[34:35], v7
	v_cvt_f64_u32_e32 v[36:37], v5
	flat_store_dwordx2 v[16:17], v[34:35]
	flat_store_dwordx2 v[20:21], v[36:37] offset:32
	s_waitcnt lgkmcnt(0)
	s_barrier
	flat_load_dwordx2 v[34:35], v[12:13]
	flat_load_dwordx2 v[36:37], v[14:15] offset:16
	s_waitcnt vmcnt(0) lgkmcnt(0)
	v_cvt_u32_f64_e32 v5, v[34:35]
	v_cvt_u32_f64_e32 v7, v[36:37]
	v_max_u32_e32 v34, v5, v7
	v_min_u32_e32 v5, v5, v7
	v_cndmask_b32_e32 v7, v34, v5, vcc
	v_cndmask_b32_e32 v5, v5, v34, vcc
	v_cvt_f64_u32_e32 v[34:35], v7
	v_cvt_f64_u32_e32 v[36:37], v5
	flat_store_dwordx2 v[12:13], v[34:35]
	flat_store_dwordx2 v[14:15], v[36:37] offset:16
	s_waitcnt lgkmcnt(0)
	s_barrier
	flat_load_dwordx4 v[48:51], v[10:11]
	v_and_b32_e32 v5, 63, v6
	v_sub_u32_e32 v36, v8, v5
	v_mov_b32_e32 v37, v9
	v_lshl_add_u64 v[34:35], v[36:37], 3, v[18:19]
	v_ashrrev_i32_e32 v37, 31, v36
	v_lshl_add_u64 v[36:37], v[36:37], 3, v[18:19]
	s_waitcnt vmcnt(0) lgkmcnt(0)
	v_cvt_u32_f64_e32 v5, v[48:49]
	v_cvt_u32_f64_e32 v7, v[50:51]
	v_max_u32_e32 v38, v5, v7
	v_min_u32_e32 v5, v5, v7
	v_cndmask_b32_e32 v7, v38, v5, vcc
	v_cndmask_b32_e32 v5, v5, v38, vcc
	v_cvt_f64_u32_e32 v[48:49], v7
	v_cvt_f64_u32_e32 v[50:51], v5
	flat_store_dwordx4 v[10:11], v[48:51]
	s_waitcnt lgkmcnt(0)
	s_barrier
	flat_load_dwordx2 v[38:39], v[34:35]
	flat_load_dwordx2 v[48:49], v[36:37] offset:512
	v_and_b32_e32 v5, 64, v6
	v_cmp_eq_u32_e32 vcc, 0, v5
	s_waitcnt vmcnt(0) lgkmcnt(0)
	v_cvt_u32_f64_e32 v7, v[38:39]
	v_cvt_u32_f64_e32 v38, v[48:49]
	v_max_u32_e32 v39, v7, v38
	v_min_u32_e32 v7, v7, v38
	v_cndmask_b32_e32 v5, v39, v7, vcc
	v_cndmask_b32_e32 v7, v7, v39, vcc
	v_cvt_f64_u32_e32 v[38:39], v5
	v_cvt_f64_u32_e32 v[48:49], v7
	flat_store_dwordx2 v[34:35], v[38:39]
	flat_store_dwordx2 v[36:37], v[48:49] offset:512
	s_waitcnt lgkmcnt(0)
	s_barrier
	flat_load_dwordx2 v[38:39], v[30:31]
	flat_load_dwordx2 v[48:49], v[32:33] offset:256
	s_waitcnt vmcnt(0) lgkmcnt(0)
	v_cvt_u32_f64_e32 v5, v[38:39]
	v_cvt_u32_f64_e32 v7, v[48:49]
	v_max_u32_e32 v38, v5, v7
	v_min_u32_e32 v5, v5, v7
	v_cndmask_b32_e32 v7, v38, v5, vcc
	v_cndmask_b32_e32 v5, v5, v38, vcc
	v_cvt_f64_u32_e32 v[38:39], v7
	v_cvt_f64_u32_e32 v[48:49], v5
	flat_store_dwordx2 v[30:31], v[38:39]
	flat_store_dwordx2 v[32:33], v[48:49] offset:256
	s_waitcnt lgkmcnt(0)
	s_barrier
	flat_load_dwordx2 v[38:39], v[26:27]
	flat_load_dwordx2 v[48:49], v[28:29] offset:128
	;; [unrolled: 15-line block ×5, first 2 shown]
	s_waitcnt vmcnt(0) lgkmcnt(0)
	v_cvt_u32_f64_e32 v5, v[38:39]
	v_cvt_u32_f64_e32 v7, v[48:49]
	v_max_u32_e32 v38, v5, v7
	v_min_u32_e32 v5, v5, v7
	v_cndmask_b32_e32 v7, v38, v5, vcc
	v_cndmask_b32_e32 v5, v5, v38, vcc
	v_cvt_f64_u32_e32 v[38:39], v7
	v_cvt_f64_u32_e32 v[48:49], v5
	flat_store_dwordx2 v[12:13], v[38:39]
	flat_store_dwordx2 v[14:15], v[48:49] offset:16
	s_waitcnt lgkmcnt(0)
	s_barrier
	flat_load_dwordx4 v[48:51], v[10:11]
	v_and_b32_e32 v5, 0x7f, v6
	v_sub_u32_e32 v8, v8, v5
	v_lshl_add_u64 v[38:39], v[8:9], 3, v[18:19]
	v_ashrrev_i32_e32 v53, 31, v8
	v_mov_b32_e32 v52, v8
	v_lshl_add_u64 v[18:19], v[52:53], 3, v[18:19]
	s_waitcnt vmcnt(0) lgkmcnt(0)
	v_cvt_u32_f64_e32 v5, v[48:49]
	v_cvt_u32_f64_e32 v7, v[50:51]
	v_max_u32_e32 v8, v5, v7
	v_min_u32_e32 v5, v5, v7
	v_cndmask_b32_e32 v7, v8, v5, vcc
	v_cndmask_b32_e32 v5, v5, v8, vcc
	v_cvt_f64_u32_e32 v[48:49], v7
	v_cvt_f64_u32_e32 v[50:51], v5
	flat_store_dwordx4 v[10:11], v[48:51]
	s_waitcnt lgkmcnt(0)
	s_barrier
	flat_load_dwordx2 v[48:49], v[38:39]
	flat_load_dwordx2 v[50:51], v[18:19] offset:1024
	v_cmp_gt_u32_e32 vcc, s2, v6
	s_waitcnt vmcnt(0) lgkmcnt(0)
	v_cvt_u32_f64_e32 v5, v[48:49]
	v_cvt_u32_f64_e32 v7, v[50:51]
	v_min_u32_e32 v8, v5, v7
	v_max_u32_e32 v5, v5, v7
	v_cvt_f64_u32_e32 v[48:49], v8
	v_cvt_f64_u32_e32 v[50:51], v5
	flat_store_dwordx2 v[38:39], v[48:49]
	flat_store_dwordx2 v[18:19], v[50:51] offset:1024
	s_waitcnt lgkmcnt(0)
	s_barrier
	flat_load_dwordx2 v[18:19], v[34:35]
	flat_load_dwordx2 v[38:39], v[36:37] offset:512
	s_waitcnt vmcnt(0) lgkmcnt(0)
	v_cvt_u32_f64_e32 v5, v[18:19]
	v_cvt_u32_f64_e32 v7, v[38:39]
	v_min_u32_e32 v8, v5, v7
	v_max_u32_e32 v5, v5, v7
	v_cvt_f64_u32_e32 v[18:19], v8
	v_cvt_f64_u32_e32 v[38:39], v5
	flat_store_dwordx2 v[34:35], v[18:19]
	flat_store_dwordx2 v[36:37], v[38:39] offset:512
	s_waitcnt lgkmcnt(0)
	s_barrier
	flat_load_dwordx2 v[18:19], v[30:31]
	flat_load_dwordx2 v[34:35], v[32:33] offset:256
	;; [unrolled: 13-line block ×6, first 2 shown]
	s_waitcnt vmcnt(0) lgkmcnt(0)
	v_cvt_u32_f64_e32 v5, v[16:17]
	v_cvt_u32_f64_e32 v7, v[18:19]
	v_min_u32_e32 v8, v5, v7
	v_max_u32_e32 v5, v5, v7
	v_cvt_f64_u32_e32 v[16:17], v8
	v_cvt_f64_u32_e32 v[18:19], v5
	flat_store_dwordx2 v[12:13], v[16:17]
	flat_store_dwordx2 v[14:15], v[18:19] offset:16
	s_waitcnt lgkmcnt(0)
	s_barrier
	flat_load_dwordx4 v[12:15], v[10:11]
	s_waitcnt vmcnt(0) lgkmcnt(0)
	v_cvt_u32_f64_e32 v5, v[12:13]
	v_cvt_u32_f64_e32 v7, v[14:15]
	v_min_u32_e32 v8, v5, v7
	v_max_u32_e32 v5, v5, v7
	v_cvt_f64_u32_e32 v[12:13], v8
	v_cvt_f64_u32_e32 v[14:15], v5
	flat_store_dwordx4 v[10:11], v[12:15]
	s_waitcnt lgkmcnt(0)
	s_barrier
	s_and_saveexec_b64 s[2:3], vcc
	s_cbranch_execz .LBB7_21
; %bb.19:
	s_mov_b64 s[4:5], 0
.LBB7_20:                               ; =>This Inner Loop Header: Depth=1
	v_add_u32_e32 v8, v4, v6
	v_lshlrev_b64 v[10:11], 3, v[8:9]
	v_lshl_add_u64 v[12:13], v[0:1], 0, v[10:11]
	flat_load_dwordx2 v[12:13], v[12:13]
	v_add_u32_e32 v5, 0x80, v6
	v_cmp_lt_u32_e32 vcc, s6, v6
	s_or_b64 s[4:5], vcc, s[4:5]
	v_mov_b32_e32 v6, v5
	v_lshl_add_u64 v[10:11], v[2:3], 0, v[10:11]
	s_waitcnt vmcnt(0) lgkmcnt(0)
	flat_store_dwordx2 v[10:11], v[12:13]
	s_andn2_b64 exec, exec, s[4:5]
	s_cbranch_execnz .LBB7_20
.LBB7_21:
	s_or_b64 exec, exec, s[2:3]
	s_or_b64 exec, exec, s[0:1]
	s_waitcnt vmcnt(0) lgkmcnt(0)
	s_setpc_b64 s[30:31]
.Lfunc_end7:
	.size	_Z14sort_thresholdIdEvPT_S1_jjS1_j, .Lfunc_end7-_Z14sort_thresholdIdEvPT_S1_jjS1_j
                                        ; -- End function
	.set .L_Z14sort_thresholdIdEvPT_S1_jjS1_j.num_vgpr, 54
	.set .L_Z14sort_thresholdIdEvPT_S1_jjS1_j.num_agpr, 0
	.set .L_Z14sort_thresholdIdEvPT_S1_jjS1_j.numbered_sgpr, 32
	.set .L_Z14sort_thresholdIdEvPT_S1_jjS1_j.num_named_barrier, 0
	.set .L_Z14sort_thresholdIdEvPT_S1_jjS1_j.private_seg_size, 0
	.set .L_Z14sort_thresholdIdEvPT_S1_jjS1_j.uses_vcc, 1
	.set .L_Z14sort_thresholdIdEvPT_S1_jjS1_j.uses_flat_scratch, 0
	.set .L_Z14sort_thresholdIdEvPT_S1_jjS1_j.has_dyn_sized_stack, 0
	.set .L_Z14sort_thresholdIdEvPT_S1_jjS1_j.has_recursion, 0
	.set .L_Z14sort_thresholdIdEvPT_S1_jjS1_j.has_indirect_call, 0
	.section	.AMDGPU.csdata,"",@progbits
; Function info:
; codeLenInByte = 5688
; TotalNumSgprs: 38
; NumVgprs: 54
; NumAgprs: 0
; TotalNumVgprs: 54
; ScratchSize: 0
; MemoryBound: 0
	.section	.text._Z13lqsort_kernelIdEvPT_S1_P11work_recordIS0_E,"axG",@progbits,_Z13lqsort_kernelIdEvPT_S1_P11work_recordIS0_E,comdat
	.protected	_Z13lqsort_kernelIdEvPT_S1_P11work_recordIS0_E ; -- Begin function _Z13lqsort_kernelIdEvPT_S1_P11work_recordIS0_E
	.globl	_Z13lqsort_kernelIdEvPT_S1_P11work_recordIS0_E
	.p2align	8
	.type	_Z13lqsort_kernelIdEvPT_S1_P11work_recordIS0_E,@function
_Z13lqsort_kernelIdEvPT_S1_P11work_recordIS0_E: ; @_Z13lqsort_kernelIdEvPT_S1_P11work_recordIS0_E
; %bb.0:
	s_mov_b64 s[12:13], s[0:1]
	s_load_dwordx2 s[0:1], s[0:1], 0x10
	s_mul_hi_u32 s3, s2, 24
	s_mul_i32 s2, s2, 24
	s_load_dwordx4 s[36:39], s[12:13], 0x0
	v_mov_b32_e32 v44, v0
	s_waitcnt lgkmcnt(0)
	s_add_u32 s0, s0, s2
	s_addc_u32 s1, s1, s3
	v_mov_b32_e32 v0, 0
	global_load_dwordx2 v[46:47], v0, s[0:1]
	global_load_dword v3, v0, s[0:1] offset:16
	v_cmp_eq_u32_e64 s[14:15], 0, v44
	s_mov_b32 s32, 0
	s_waitcnt vmcnt(1)
	v_sub_u32_e32 v1, v47, v46
	s_and_saveexec_b64 s[0:1], s[14:15]
	s_cbranch_execz .LBB8_2
; %bb.1:
	v_mov_b32_e32 v2, 1
	ds_write_b32 v0, v0 offset:30212
	ds_write_b96 v0, v[0:2] offset:30752
.LBB8_2:
	s_or_b64 exec, exec, s[0:1]
	s_waitcnt vmcnt(0)
	v_cmp_eq_u32_e32 vcc, 1, v3
	v_cmp_lt_u32_e64 s[0:1], v44, v1
	s_mov_b64 s[2:3], -1
	s_cbranch_vccnz .LBB8_7
; %bb.3:
	s_and_saveexec_b64 s[2:3], s[0:1]
	s_cbranch_execz .LBB8_6
; %bb.4:
	v_lshlrev_b32_e32 v0, 3, v44
	s_mov_b64 s[4:5], 0
	v_mov_b32_e32 v3, 0
	v_mov_b32_e32 v4, v44
.LBB8_5:                                ; =>This Inner Loop Header: Depth=1
	v_add_u32_e32 v2, v46, v4
	v_lshl_add_u64 v[6:7], v[2:3], 3, s[38:39]
	global_load_dwordx2 v[6:7], v[6:7], off
	v_add_u32_e32 v4, 0x80, v4
	v_cmp_ge_u32_e32 vcc, v4, v1
	s_or_b64 s[4:5], vcc, s[4:5]
	s_waitcnt vmcnt(0)
	ds_write_b64 v0, v[6:7]
	v_add_u32_e32 v0, 0x400, v0
	s_andn2_b64 exec, exec, s[4:5]
	s_cbranch_execnz .LBB8_5
.LBB8_6:
	s_or_b64 exec, exec, s[2:3]
	s_mov_b64 s[2:3], 0
.LBB8_7:
	s_andn2_b64 vcc, exec, s[2:3]
	s_cbranch_vccnz .LBB8_12
; %bb.8:
	s_and_saveexec_b64 s[2:3], s[0:1]
	s_cbranch_execz .LBB8_11
; %bb.9:
	v_lshlrev_b32_e32 v0, 3, v44
	s_mov_b64 s[0:1], 0
	v_mov_b32_e32 v3, 0
	v_mov_b32_e32 v4, v44
.LBB8_10:                               ; =>This Inner Loop Header: Depth=1
	v_add_u32_e32 v2, v46, v4
	v_lshl_add_u64 v[6:7], v[2:3], 3, s[36:37]
	global_load_dwordx2 v[6:7], v[6:7], off
	v_add_u32_e32 v4, 0x80, v4
	v_cmp_ge_u32_e32 vcc, v4, v1
	s_or_b64 s[0:1], vcc, s[0:1]
	s_waitcnt vmcnt(0)
	ds_write_b64 v0, v[6:7]
	v_add_u32_e32 v0, 0x400, v0
	s_andn2_b64 exec, exec, s[0:1]
	s_cbranch_execnz .LBB8_10
.LBB8_11:
	s_or_b64 exec, exec, s[2:3]
.LBB8_12:
	v_mov_b32_e32 v55, 0
	s_waitcnt lgkmcnt(0)
	s_barrier
	ds_read_b32 v0, v55 offset:30212
	s_waitcnt lgkmcnt(0)
	v_cmp_gt_i32_e32 vcc, 0, v0
	s_cbranch_vccnz .LBB8_75
; %bb.13:
	v_mov_b32_e32 v47, v55
	v_lshlrev_b64 v[2:3], 3, v[46:47]
	v_lshl_add_u64 v[40:41], s[36:37], 0, v[2:3]
	v_and_b32_e32 v2, 1, v44
	v_cmp_eq_u32_e64 s[16:17], 1, v2
	v_and_b32_e32 v2, 3, v44
	v_cmp_eq_u32_e64 s[18:19], 3, v2
	v_and_b32_e32 v2, 7, v44
	v_cmp_eq_u32_e64 s[20:21], 7, v2
	v_and_b32_e32 v2, 15, v44
	v_cmp_eq_u32_e64 s[22:23], 15, v2
	v_and_b32_e32 v2, 31, v44
	s_movk_i32 s0, 0x7400
	v_cmp_eq_u32_e64 s[24:25], 31, v2
	v_and_b32_e32 v2, 63, v44
	v_lshlrev_b32_e32 v1, 2, v44
	s_movk_i32 s1, 0x7600
	v_cmp_eq_u32_e64 s[26:27], 63, v2
	s_movk_i32 s2, 0x7f
	v_and_b32_e32 v2, 0x7f, v44
	v_add_u32_e64 v72, s0, 0
	s_movk_i32 s0, 0x7800
	s_mov_b64 s[34:35], src_shared_base
	v_add_u32_e32 v45, 0x7400, v1
	v_add_u32_e32 v56, 0x7610, v1
	;; [unrolled: 1-line block ×14, first 2 shown]
	v_cmp_eq_u32_e64 s[28:29], s2, v2
	v_add_u32_e32 v68, 0x7510, v1
	v_add_u32_e32 v69, 0x7300, v1
	v_mov_b32_e32 v70, 0x3600
	s_movk_i32 s11, 0x100
	v_add_u32_e64 v71, s1, 0
	v_add_u32_e64 v73, s0, 0
	s_branch .LBB8_15
.LBB8_14:                               ;   in Loop: Header=BB8_15 Depth=1
	ds_read_b32 v0, v55 offset:30212
	s_waitcnt lgkmcnt(0)
	v_cmp_lt_i32_e32 vcc, -1, v0
	s_cbranch_vccz .LBB8_75
.LBB8_15:                               ; =>This Loop Header: Depth=1
                                        ;     Child Loop BB8_21 Depth 2
                                        ;     Child Loop BB8_56 Depth 2
	;; [unrolled: 1-line block ×3, first 2 shown]
	v_mul_lo_u32 v0, v0, 12
	v_add_u32_e32 v1, 0x7820, v0
	ds_read2_b32 v[42:43], v1 offset1:1
	ds_read_b32 v74, v0 offset:30760
	s_waitcnt lgkmcnt(0)
	s_barrier
	s_and_saveexec_b64 s[0:1], s[14:15]
	s_cbranch_execz .LBB8_17
; %bb.16:                               ;   in Loop: Header=BB8_15 Depth=1
	ds_read_b32 v0, v55 offset:30212
	s_waitcnt lgkmcnt(0)
	v_add_u32_e32 v0, -1, v0
	ds_write2_b32 v71, v0, v55 offset0:1 offset1:133
	ds_write_b32 v55, v55 offset:30824
.LBB8_17:                               ;   in Loop: Header=BB8_15 Depth=1
	s_or_b64 exec, exec, s[0:1]
	v_cmp_eq_u32_e32 vcc, 1, v74
	v_mov_b32_e32 v1, s35
	v_mov_b32_e32 v3, s35
	v_cndmask_b32_e64 v0, v70, 0, vcc
	v_cndmask_b32_e32 v2, 0, v70, vcc
	ds_write2_b64 v72, v[0:1], v[2:3] offset0:65 offset1:131
	ds_write_b32 v45, v55
	ds_write_b32 v56, v55
	s_waitcnt lgkmcnt(0)
	s_barrier
	ds_read_b64 v[0:1], v55 offset:30216
	v_mov_b32_e32 v54, v42
	v_lshlrev_b64 v[2:3], 3, v[54:55]
	v_cmp_ge_u32_e32 vcc, v42, v43
	s_and_b64 vcc, exec, vcc
	s_waitcnt lgkmcnt(0)
	v_lshl_add_u64 v[2:3], v[0:1], 0, v[2:3]
	flat_load_dwordx2 v[2:3], v[2:3]
	s_waitcnt vmcnt(0) lgkmcnt(0)
	v_cvt_u32_f64_e32 v10, v[2:3]
	s_cbranch_vccnz .LBB8_19
; %bb.18:                               ;   in Loop: Header=BB8_15 Depth=1
	v_add_u32_e32 v2, v43, v42
	v_lshrrev_b32_e32 v54, 1, v2
	v_lshlrev_b64 v[2:3], 3, v[54:55]
	v_add_u32_e32 v54, -1, v43
	v_lshl_add_u64 v[2:3], v[0:1], 0, v[2:3]
	v_lshlrev_b64 v[4:5], 3, v[54:55]
	v_lshl_add_u64 v[4:5], v[0:1], 0, v[4:5]
	flat_load_dwordx2 v[6:7], v[2:3]
	flat_load_dwordx2 v[8:9], v[4:5]
	s_waitcnt vmcnt(0) lgkmcnt(0)
	v_cvt_u32_f64_e32 v2, v[6:7]
	v_cvt_u32_f64_e32 v3, v[8:9]
	v_max_u32_e32 v4, v10, v2
	v_min_u32_e32 v2, v10, v2
	v_max_u32_e32 v2, v2, v3
	v_cmp_lt_u32_e32 vcc, v4, v3
	s_nop 1
	v_cndmask_b32_e32 v10, v2, v4, vcc
.LBB8_19:                               ;   in Loop: Header=BB8_15 Depth=1
	v_add_u32_e32 v11, v42, v44
	v_cmp_lt_u32_e32 vcc, v11, v43
	v_mov_b32_e32 v2, 0
	v_mov_b32_e32 v3, 0
	s_and_saveexec_b64 s[2:3], vcc
	s_cbranch_execz .LBB8_23
; %bb.20:                               ;   in Loop: Header=BB8_15 Depth=1
	v_mov_b32_e32 v2, 0
	s_mov_b64 s[4:5], 0
	v_mov_b32_e32 v54, v11
	v_mov_b32_e32 v3, 0
.LBB8_21:                               ;   Parent Loop BB8_15 Depth=1
                                        ; =>  This Inner Loop Header: Depth=2
	v_lshl_add_u64 v[4:5], v[54:55], 3, v[0:1]
	flat_load_dwordx2 v[4:5], v[4:5]
	v_add_u32_e32 v54, 0x80, v54
	v_cmp_ge_u32_e64 s[0:1], v54, v43
	s_or_b64 s[4:5], s[0:1], s[4:5]
	s_waitcnt vmcnt(0) lgkmcnt(0)
	v_cvt_u32_f64_e32 v4, v[4:5]
	v_cmp_gt_u32_e64 s[0:1], v10, v4
	s_nop 1
	v_addc_co_u32_e64 v2, s[0:1], 0, v2, s[0:1]
	v_cmp_lt_u32_e64 s[0:1], v10, v4
	s_nop 1
	v_addc_co_u32_e64 v3, s[0:1], 0, v3, s[0:1]
	s_andn2_b64 exec, exec, s[4:5]
	s_cbranch_execnz .LBB8_21
; %bb.22:                               ;   in Loop: Header=BB8_15 Depth=1
	s_or_b64 exec, exec, s[4:5]
.LBB8_23:                               ;   in Loop: Header=BB8_15 Depth=1
	s_or_b64 exec, exec, s[2:3]
	ds_write_b32 v56, v2
	ds_write_b32 v45, v3
	s_waitcnt lgkmcnt(0)
	s_barrier
	s_and_saveexec_b64 s[0:1], s[16:17]
	s_cbranch_execz .LBB8_25
; %bb.24:                               ;   in Loop: Header=BB8_15 Depth=1
	ds_read2_b32 v[0:1], v47 offset1:1
	ds_read2_b32 v[2:3], v57 offset1:1
	s_waitcnt lgkmcnt(1)
	v_add_u32_e32 v0, v1, v0
	s_waitcnt lgkmcnt(0)
	v_add_u32_e32 v1, v3, v2
	ds_write_b32 v56, v0
	ds_write_b32 v45, v1
.LBB8_25:                               ;   in Loop: Header=BB8_15 Depth=1
	s_or_b64 exec, exec, s[0:1]
	s_waitcnt lgkmcnt(0)
	s_barrier
	s_and_saveexec_b64 s[0:1], s[18:19]
	s_cbranch_execz .LBB8_27
; %bb.26:                               ;   in Loop: Header=BB8_15 Depth=1
	ds_read_b32 v0, v58
	ds_read_b32 v1, v59
	ds_read_b32 v2, v56
	ds_read_b32 v3, v45
	s_waitcnt lgkmcnt(1)
	v_add_u32_e32 v0, v2, v0
	s_waitcnt lgkmcnt(0)
	v_add_u32_e32 v1, v3, v1
	ds_write_b32 v56, v0
	ds_write_b32 v45, v1
.LBB8_27:                               ;   in Loop: Header=BB8_15 Depth=1
	s_or_b64 exec, exec, s[0:1]
	s_waitcnt lgkmcnt(0)
	s_barrier
	s_and_saveexec_b64 s[0:1], s[20:21]
	s_cbranch_execz .LBB8_29
; %bb.28:                               ;   in Loop: Header=BB8_15 Depth=1
	ds_read_b32 v0, v60
	ds_read_b32 v1, v61
	ds_read_b32 v2, v56
	ds_read_b32 v3, v45
	s_waitcnt lgkmcnt(1)
	v_add_u32_e32 v0, v2, v0
	s_waitcnt lgkmcnt(0)
	v_add_u32_e32 v1, v3, v1
	ds_write_b32 v56, v0
	ds_write_b32 v45, v1
.LBB8_29:                               ;   in Loop: Header=BB8_15 Depth=1
	;; [unrolled: 17-line block ×6, first 2 shown]
	s_or_b64 exec, exec, s[0:1]
	s_waitcnt lgkmcnt(0)
	s_barrier
	s_and_saveexec_b64 s[0:1], s[28:29]
	s_cbranch_execz .LBB8_39
; %bb.38:                               ;   in Loop: Header=BB8_15 Depth=1
	ds_read_b32 v0, v56
	ds_read_b32 v1, v45
	s_waitcnt lgkmcnt(1)
	ds_write_b32 v55, v0 offset:30824
	s_waitcnt lgkmcnt(1)
	ds_write_b64 v55, v[0:1] offset:30736
	ds_write_b32 v55, v1 offset:30208
	ds_write_b32 v56, v55
	ds_write_b32 v45, v55
.LBB8_39:                               ;   in Loop: Header=BB8_15 Depth=1
	s_or_b64 exec, exec, s[0:1]
	s_and_saveexec_b64 s[0:1], s[28:29]
	s_cbranch_execz .LBB8_41
; %bb.40:                               ;   in Loop: Header=BB8_15 Depth=1
	ds_read_b32 v0, v69
	ds_read_b32 v1, v56
	ds_read_b32 v2, v68
	ds_read_b32 v3, v45
	s_waitcnt lgkmcnt(2)
	ds_write_b32 v68, v1
	s_waitcnt lgkmcnt(2)
	v_add_u32_e32 v1, v1, v2
	s_waitcnt lgkmcnt(1)
	v_add_u32_e32 v0, v3, v0
	ds_write_b32 v56, v1
	ds_write_b32 v69, v3
	ds_write_b32 v45, v0
.LBB8_41:                               ;   in Loop: Header=BB8_15 Depth=1
	s_or_b64 exec, exec, s[0:1]
	s_waitcnt lgkmcnt(0)
	s_barrier
	s_and_saveexec_b64 s[0:1], s[26:27]
	s_cbranch_execz .LBB8_43
; %bb.42:                               ;   in Loop: Header=BB8_15 Depth=1
	ds_read_b32 v0, v67
	ds_read_b32 v1, v56
	ds_read_b32 v2, v66
	ds_read_b32 v3, v45
	s_waitcnt lgkmcnt(2)
	ds_write_b32 v66, v1
	s_waitcnt lgkmcnt(2)
	v_add_u32_e32 v1, v1, v2
	s_waitcnt lgkmcnt(1)
	v_add_u32_e32 v0, v3, v0
	ds_write_b32 v56, v1
	ds_write_b32 v67, v3
	ds_write_b32 v45, v0
.LBB8_43:                               ;   in Loop: Header=BB8_15 Depth=1
	s_or_b64 exec, exec, s[0:1]
	s_waitcnt lgkmcnt(0)
	s_barrier
	;; [unrolled: 20-line block ×6, first 2 shown]
	s_and_saveexec_b64 s[0:1], s[16:17]
	s_cbranch_execz .LBB8_53
; %bb.52:                               ;   in Loop: Header=BB8_15 Depth=1
	ds_read2_b32 v[0:1], v47 offset1:1
	ds_read2_b32 v[2:3], v57 offset1:1
	s_waitcnt lgkmcnt(1)
	v_add_u32_e32 v0, v1, v0
	s_waitcnt lgkmcnt(0)
	v_add_u32_e32 v2, v3, v2
	ds_write2_b32 v47, v1, v0 offset1:1
	ds_write2_b32 v57, v3, v2 offset1:1
.LBB8_53:                               ;   in Loop: Header=BB8_15 Depth=1
	s_or_b64 exec, exec, s[0:1]
	s_waitcnt lgkmcnt(0)
	s_barrier
	s_and_saveexec_b64 s[0:1], vcc
	s_cbranch_execz .LBB8_60
; %bb.54:                               ;   in Loop: Header=BB8_15 Depth=1
	ds_read_b32 v4, v45 offset:4
	ds_read_b32 v5, v56
	ds_read2_b64 v[0:3], v72 offset0:65 offset1:131
	s_mov_b64 s[2:3], 0
	v_mov_b32_e32 v54, v11
	s_waitcnt lgkmcnt(2)
	v_sub_u32_e32 v4, v43, v4
	s_waitcnt lgkmcnt(1)
	v_add_u32_e32 v6, v5, v42
	s_branch .LBB8_56
.LBB8_55:                               ;   in Loop: Header=BB8_56 Depth=2
	s_or_b64 exec, exec, s[4:5]
	v_add_u32_e32 v54, 0x80, v54
	v_cmp_ge_u32_e32 vcc, v54, v43
	s_or_b64 s[2:3], vcc, s[2:3]
	s_andn2_b64 exec, exec, s[2:3]
	s_cbranch_execz .LBB8_60
.LBB8_56:                               ;   Parent Loop BB8_15 Depth=1
                                        ; =>  This Inner Loop Header: Depth=2
	s_waitcnt lgkmcnt(0)
	v_lshl_add_u64 v[8:9], v[54:55], 3, v[0:1]
	flat_load_dwordx2 v[8:9], v[8:9]
	s_waitcnt vmcnt(0) lgkmcnt(0)
	v_cvt_u32_f64_e32 v5, v[8:9]
	v_cmp_gt_u32_e32 vcc, v10, v5
	v_cvt_f64_u32_e32 v[8:9], v5
	s_and_saveexec_b64 s[4:5], vcc
	s_cbranch_execz .LBB8_58
; %bb.57:                               ;   in Loop: Header=BB8_56 Depth=2
	v_mov_b32_e32 v7, v55
	v_add_u32_e32 v12, 1, v6
	v_lshl_add_u64 v[6:7], v[6:7], 3, v[2:3]
	flat_store_dwordx2 v[6:7], v[8:9]
	v_mov_b32_e32 v6, v12
.LBB8_58:                               ;   in Loop: Header=BB8_56 Depth=2
	s_or_b64 exec, exec, s[4:5]
	v_cmp_lt_u32_e32 vcc, v10, v5
	s_and_saveexec_b64 s[4:5], vcc
	s_cbranch_execz .LBB8_55
; %bb.59:                               ;   in Loop: Header=BB8_56 Depth=2
	v_mov_b32_e32 v5, v55
	v_add_u32_e32 v7, 1, v4
	v_lshl_add_u64 v[4:5], v[4:5], 3, v[2:3]
	flat_store_dwordx2 v[4:5], v[8:9]
	v_mov_b32_e32 v4, v7
	s_branch .LBB8_55
.LBB8_60:                               ;   in Loop: Header=BB8_15 Depth=1
	s_or_b64 exec, exec, s[0:1]
	s_waitcnt lgkmcnt(0)
	s_barrier
	ds_read2_b32 v[0:1], v73 offset0:5 offset1:26
	s_waitcnt lgkmcnt(0)
	v_add_u32_e32 v2, v11, v1
	v_sub_u32_e32 v3, v43, v0
	v_cmp_lt_u32_e32 vcc, v2, v3
	s_and_saveexec_b64 s[0:1], vcc
	s_cbranch_execz .LBB8_63
; %bb.61:                               ;   in Loop: Header=BB8_15 Depth=1
	v_cvt_f64_u32_e32 v[0:1], v10
	s_mov_b64 s[2:3], 0
.LBB8_62:                               ;   Parent Loop BB8_15 Depth=1
                                        ; =>  This Inner Loop Header: Depth=2
	v_add_u32_e32 v54, v46, v2
	v_add_u32_e32 v2, 0x80, v2
	v_cmp_ge_u32_e32 vcc, v2, v3
	v_lshl_add_u64 v[4:5], v[54:55], 3, s[36:37]
	s_or_b64 s[2:3], vcc, s[2:3]
	global_store_dwordx2 v[4:5], v[0:1], off
	s_andn2_b64 exec, exec, s[2:3]
	s_cbranch_execnz .LBB8_62
.LBB8_63:                               ;   in Loop: Header=BB8_15 Depth=1
	s_or_b64 exec, exec, s[0:1]
	s_barrier
	ds_read_b32 v2, v55 offset:30824
	s_mov_b64 s[0:1], -1
	s_waitcnt lgkmcnt(0)
	v_cmp_lt_u32_e32 vcc, s11, v2
	s_cbranch_vccz .LBB8_67
; %bb.64:                               ;   in Loop: Header=BB8_15 Depth=1
	s_and_saveexec_b64 s[0:1], s[14:15]
	s_cbranch_execz .LBB8_66
; %bb.65:                               ;   in Loop: Header=BB8_15 Depth=1
	ds_read_b32 v0, v55 offset:30212
	v_add_u32_e32 v1, v2, v42
	v_xor_b32_e32 v3, 1, v74
	s_waitcnt lgkmcnt(0)
	v_add_u32_e32 v4, 1, v0
	v_mul_lo_u32 v0, v0, 12
	ds_write_b32 v55, v4 offset:30212
	v_add_u32_e32 v4, 0x782c, v0
	ds_write2_b32 v4, v42, v1 offset1:1
	ds_write_b32 v0, v3 offset:30772
.LBB8_66:                               ;   in Loop: Header=BB8_15 Depth=1
	s_or_b64 exec, exec, s[0:1]
	s_mov_b64 s[0:1], 0
	s_waitcnt lgkmcnt(0)
	s_barrier
.LBB8_67:                               ;   in Loop: Header=BB8_15 Depth=1
	s_and_b64 vcc, exec, s[0:1]
	s_cbranch_vccz .LBB8_69
; %bb.68:                               ;   in Loop: Header=BB8_15 Depth=1
	ds_read_b64 v[0:1], v55 offset:30744
	s_add_u32 s8, s12, 24
	s_addc_u32 s9, s13, 0
	v_add_u32_e32 v5, v2, v42
	s_getpc_b64 s[0:1]
	s_add_u32 s0, s0, _Z14sort_thresholdIdEvPT_S1_jjS1_j@rel32@lo+4
	s_addc_u32 s1, s1, _Z14sort_thresholdIdEvPT_S1_jjS1_j@rel32@hi+12
	v_mov_b32_e32 v2, v40
	v_mov_b32_e32 v3, v41
	;; [unrolled: 1-line block ×4, first 2 shown]
	s_swappc_b64 s[30:31], s[0:1]
.LBB8_69:                               ;   in Loop: Header=BB8_15 Depth=1
	ds_read_b32 v2, v55 offset:30740
	s_mov_b64 s[0:1], -1
	s_waitcnt lgkmcnt(0)
	v_cmp_lt_u32_e32 vcc, s11, v2
	s_cbranch_vccnz .LBB8_71
; %bb.70:                               ;   in Loop: Header=BB8_15 Depth=1
	s_and_b64 vcc, exec, s[0:1]
	s_cbranch_vccz .LBB8_14
	s_branch .LBB8_74
.LBB8_71:                               ;   in Loop: Header=BB8_15 Depth=1
	s_and_saveexec_b64 s[0:1], s[14:15]
	s_cbranch_execz .LBB8_73
; %bb.72:                               ;   in Loop: Header=BB8_15 Depth=1
	ds_read_b32 v0, v55 offset:30212
	v_sub_u32_e32 v1, v43, v2
	v_xor_b32_e32 v3, 1, v74
	s_waitcnt lgkmcnt(0)
	v_add_u32_e32 v4, 1, v0
	v_mul_lo_u32 v0, v0, 12
	ds_write_b32 v55, v4 offset:30212
	v_add_u32_e32 v4, 0x782c, v0
	ds_write2_b32 v4, v1, v43 offset1:1
	ds_write_b32 v0, v3 offset:30772
.LBB8_73:                               ;   in Loop: Header=BB8_15 Depth=1
	s_or_b64 exec, exec, s[0:1]
	s_waitcnt lgkmcnt(0)
	s_barrier
	s_branch .LBB8_14
.LBB8_74:                               ;   in Loop: Header=BB8_15 Depth=1
	ds_read_b64 v[0:1], v55 offset:30744
	s_add_u32 s8, s12, 24
	s_addc_u32 s9, s13, 0
	v_sub_u32_e32 v4, v43, v2
	s_getpc_b64 s[0:1]
	s_add_u32 s0, s0, _Z14sort_thresholdIdEvPT_S1_jjS1_j@rel32@lo+4
	s_addc_u32 s1, s1, _Z14sort_thresholdIdEvPT_S1_jjS1_j@rel32@hi+12
	v_mov_b32_e32 v2, v40
	v_mov_b32_e32 v3, v41
	;; [unrolled: 1-line block ×4, first 2 shown]
	s_swappc_b64 s[30:31], s[0:1]
	s_branch .LBB8_14
.LBB8_75:
	s_endpgm
	.section	.rodata,"a",@progbits
	.p2align	6, 0x0
	.amdhsa_kernel _Z13lqsort_kernelIdEvPT_S1_P11work_recordIS0_E
		.amdhsa_group_segment_fixed_size 30832
		.amdhsa_private_segment_fixed_size 0
		.amdhsa_kernarg_size 280
		.amdhsa_user_sgpr_count 2
		.amdhsa_user_sgpr_dispatch_ptr 0
		.amdhsa_user_sgpr_queue_ptr 0
		.amdhsa_user_sgpr_kernarg_segment_ptr 1
		.amdhsa_user_sgpr_dispatch_id 0
		.amdhsa_user_sgpr_kernarg_preload_length 0
		.amdhsa_user_sgpr_kernarg_preload_offset 0
		.amdhsa_user_sgpr_private_segment_size 0
		.amdhsa_uses_dynamic_stack 0
		.amdhsa_enable_private_segment 0
		.amdhsa_system_sgpr_workgroup_id_x 1
		.amdhsa_system_sgpr_workgroup_id_y 0
		.amdhsa_system_sgpr_workgroup_id_z 0
		.amdhsa_system_sgpr_workgroup_info 0
		.amdhsa_system_vgpr_workitem_id 0
		.amdhsa_next_free_vgpr 75
		.amdhsa_next_free_sgpr 40
		.amdhsa_accum_offset 76
		.amdhsa_reserve_vcc 1
		.amdhsa_float_round_mode_32 0
		.amdhsa_float_round_mode_16_64 0
		.amdhsa_float_denorm_mode_32 3
		.amdhsa_float_denorm_mode_16_64 3
		.amdhsa_dx10_clamp 1
		.amdhsa_ieee_mode 1
		.amdhsa_fp16_overflow 0
		.amdhsa_tg_split 0
		.amdhsa_exception_fp_ieee_invalid_op 0
		.amdhsa_exception_fp_denorm_src 0
		.amdhsa_exception_fp_ieee_div_zero 0
		.amdhsa_exception_fp_ieee_overflow 0
		.amdhsa_exception_fp_ieee_underflow 0
		.amdhsa_exception_fp_ieee_inexact 0
		.amdhsa_exception_int_div_zero 0
	.end_amdhsa_kernel
	.section	.text._Z13lqsort_kernelIdEvPT_S1_P11work_recordIS0_E,"axG",@progbits,_Z13lqsort_kernelIdEvPT_S1_P11work_recordIS0_E,comdat
.Lfunc_end8:
	.size	_Z13lqsort_kernelIdEvPT_S1_P11work_recordIS0_E, .Lfunc_end8-_Z13lqsort_kernelIdEvPT_S1_P11work_recordIS0_E
                                        ; -- End function
	.set _Z13lqsort_kernelIdEvPT_S1_P11work_recordIS0_E.num_vgpr, max(75, .L_Z14sort_thresholdIdEvPT_S1_jjS1_j.num_vgpr)
	.set _Z13lqsort_kernelIdEvPT_S1_P11work_recordIS0_E.num_agpr, max(0, .L_Z14sort_thresholdIdEvPT_S1_jjS1_j.num_agpr)
	.set _Z13lqsort_kernelIdEvPT_S1_P11work_recordIS0_E.numbered_sgpr, max(40, .L_Z14sort_thresholdIdEvPT_S1_jjS1_j.numbered_sgpr)
	.set _Z13lqsort_kernelIdEvPT_S1_P11work_recordIS0_E.num_named_barrier, max(0, .L_Z14sort_thresholdIdEvPT_S1_jjS1_j.num_named_barrier)
	.set _Z13lqsort_kernelIdEvPT_S1_P11work_recordIS0_E.private_seg_size, 0+max(.L_Z14sort_thresholdIdEvPT_S1_jjS1_j.private_seg_size)
	.set _Z13lqsort_kernelIdEvPT_S1_P11work_recordIS0_E.uses_vcc, or(1, .L_Z14sort_thresholdIdEvPT_S1_jjS1_j.uses_vcc)
	.set _Z13lqsort_kernelIdEvPT_S1_P11work_recordIS0_E.uses_flat_scratch, or(0, .L_Z14sort_thresholdIdEvPT_S1_jjS1_j.uses_flat_scratch)
	.set _Z13lqsort_kernelIdEvPT_S1_P11work_recordIS0_E.has_dyn_sized_stack, or(0, .L_Z14sort_thresholdIdEvPT_S1_jjS1_j.has_dyn_sized_stack)
	.set _Z13lqsort_kernelIdEvPT_S1_P11work_recordIS0_E.has_recursion, or(0, .L_Z14sort_thresholdIdEvPT_S1_jjS1_j.has_recursion)
	.set _Z13lqsort_kernelIdEvPT_S1_P11work_recordIS0_E.has_indirect_call, or(0, .L_Z14sort_thresholdIdEvPT_S1_jjS1_j.has_indirect_call)
	.section	.AMDGPU.csdata,"",@progbits
; Kernel info:
; codeLenInByte = 3172
; TotalNumSgprs: 46
; NumVgprs: 75
; NumAgprs: 0
; TotalNumVgprs: 75
; ScratchSize: 0
; MemoryBound: 0
; FloatMode: 240
; IeeeMode: 1
; LDSByteSize: 30832 bytes/workgroup (compile time only)
; SGPRBlocks: 5
; VGPRBlocks: 9
; NumSGPRsForWavesPerEU: 46
; NumVGPRsForWavesPerEU: 75
; AccumOffset: 76
; Occupancy: 6
; WaveLimiterHint : 1
; COMPUTE_PGM_RSRC2:SCRATCH_EN: 0
; COMPUTE_PGM_RSRC2:USER_SGPR: 2
; COMPUTE_PGM_RSRC2:TRAP_HANDLER: 0
; COMPUTE_PGM_RSRC2:TGID_X_EN: 1
; COMPUTE_PGM_RSRC2:TGID_Y_EN: 0
; COMPUTE_PGM_RSRC2:TGID_Z_EN: 0
; COMPUTE_PGM_RSRC2:TIDIG_COMP_CNT: 0
; COMPUTE_PGM_RSRC3_GFX90A:ACCUM_OFFSET: 18
; COMPUTE_PGM_RSRC3_GFX90A:TG_SPLIT: 0
	.text
	.p2alignl 6, 3212836864
	.fill 256, 4, 3212836864
	.section	.AMDGPU.gpr_maximums,"",@progbits
	.set amdgpu.max_num_vgpr, 54
	.set amdgpu.max_num_agpr, 0
	.set amdgpu.max_num_sgpr, 32
	.text
	.type	__hip_cuid_81f00d56e8be520e,@object ; @__hip_cuid_81f00d56e8be520e
	.section	.bss,"aw",@nobits
	.globl	__hip_cuid_81f00d56e8be520e
__hip_cuid_81f00d56e8be520e:
	.byte	0                               ; 0x0
	.size	__hip_cuid_81f00d56e8be520e, 1

	.ident	"AMD clang version 22.0.0git (https://github.com/RadeonOpenCompute/llvm-project roc-7.2.4 26084 f58b06dce1f9c15707c5f808fd002e18c2accf7e)"
	.section	".note.GNU-stack","",@progbits
	.addrsig
	.addrsig_sym __hip_cuid_81f00d56e8be520e
	.amdgpu_metadata
---
amdhsa.kernels:
  - .agpr_count:     0
    .args:
      - .address_space:  global
        .offset:         0
        .size:           8
        .value_kind:     global_buffer
      - .address_space:  global
        .offset:         8
        .size:           8
        .value_kind:     global_buffer
      - .address_space:  global
        .offset:         16
        .size:           8
        .value_kind:     global_buffer
      - .address_space:  global
        .offset:         24
        .size:           8
        .value_kind:     global_buffer
      - .address_space:  global
        .offset:         32
        .size:           8
        .value_kind:     global_buffer
    .group_segment_fixed_size: 1048
    .kernarg_segment_align: 8
    .kernarg_segment_size: 40
    .language:       OpenCL C
    .language_version:
      - 2
      - 0
    .max_flat_workgroup_size: 1024
    .name:           _Z13gqsort_kernelIjEvPT_S1_P12block_recordIS0_EP13parent_recordP11work_recordIS0_E
    .private_segment_fixed_size: 0
    .sgpr_count:     42
    .sgpr_spill_count: 0
    .symbol:         _Z13gqsort_kernelIjEvPT_S1_P12block_recordIS0_EP13parent_recordP11work_recordIS0_E.kd
    .uniform_work_group_size: 1
    .uses_dynamic_stack: false
    .vgpr_count:     20
    .vgpr_spill_count: 0
    .wavefront_size: 64
  - .agpr_count:     0
    .args:
      - .address_space:  global
        .offset:         0
        .size:           8
        .value_kind:     global_buffer
      - .address_space:  global
        .offset:         8
        .size:           8
        .value_kind:     global_buffer
      - .address_space:  global
        .offset:         16
        .size:           8
        .value_kind:     global_buffer
      - .offset:         24
        .size:           4
        .value_kind:     hidden_block_count_x
      - .offset:         28
        .size:           4
        .value_kind:     hidden_block_count_y
      - .offset:         32
        .size:           4
        .value_kind:     hidden_block_count_z
      - .offset:         36
        .size:           2
        .value_kind:     hidden_group_size_x
      - .offset:         38
        .size:           2
        .value_kind:     hidden_group_size_y
      - .offset:         40
        .size:           2
        .value_kind:     hidden_group_size_z
      - .offset:         42
        .size:           2
        .value_kind:     hidden_remainder_x
      - .offset:         44
        .size:           2
        .value_kind:     hidden_remainder_y
      - .offset:         46
        .size:           2
        .value_kind:     hidden_remainder_z
      - .offset:         64
        .size:           8
        .value_kind:     hidden_global_offset_x
      - .offset:         72
        .size:           8
        .value_kind:     hidden_global_offset_y
      - .offset:         80
        .size:           8
        .value_kind:     hidden_global_offset_z
      - .offset:         88
        .size:           2
        .value_kind:     hidden_grid_dims
    .group_segment_fixed_size: 15984
    .kernarg_segment_align: 8
    .kernarg_segment_size: 280
    .language:       OpenCL C
    .language_version:
      - 2
      - 0
    .max_flat_workgroup_size: 1024
    .name:           _Z13lqsort_kernelIjEvPT_S1_P11work_recordIS0_E
    .private_segment_fixed_size: 0
    .sgpr_count:     51
    .sgpr_spill_count: 0
    .symbol:         _Z13lqsort_kernelIjEvPT_S1_P11work_recordIS0_E.kd
    .uniform_work_group_size: 1
    .uses_dynamic_stack: false
    .vgpr_count:     71
    .vgpr_spill_count: 0
    .wavefront_size: 64
  - .agpr_count:     0
    .args:
      - .address_space:  global
        .offset:         0
        .size:           8
        .value_kind:     global_buffer
      - .address_space:  global
        .offset:         8
        .size:           8
        .value_kind:     global_buffer
      - .address_space:  global
        .offset:         16
        .size:           8
        .value_kind:     global_buffer
      - .address_space:  global
        .offset:         24
        .size:           8
        .value_kind:     global_buffer
      - .address_space:  global
        .offset:         32
        .size:           8
        .value_kind:     global_buffer
    .group_segment_fixed_size: 1048
    .kernarg_segment_align: 8
    .kernarg_segment_size: 40
    .language:       OpenCL C
    .language_version:
      - 2
      - 0
    .max_flat_workgroup_size: 1024
    .name:           _Z13gqsort_kernelIfEvPT_S1_P12block_recordIS0_EP13parent_recordP11work_recordIS0_E
    .private_segment_fixed_size: 0
    .sgpr_count:     42
    .sgpr_spill_count: 0
    .symbol:         _Z13gqsort_kernelIfEvPT_S1_P12block_recordIS0_EP13parent_recordP11work_recordIS0_E.kd
    .uniform_work_group_size: 1
    .uses_dynamic_stack: false
    .vgpr_count:     20
    .vgpr_spill_count: 0
    .wavefront_size: 64
  - .agpr_count:     0
    .args:
      - .address_space:  global
        .offset:         0
        .size:           8
        .value_kind:     global_buffer
      - .address_space:  global
        .offset:         8
        .size:           8
        .value_kind:     global_buffer
      - .address_space:  global
        .offset:         16
        .size:           8
        .value_kind:     global_buffer
      - .offset:         24
        .size:           4
        .value_kind:     hidden_block_count_x
      - .offset:         28
        .size:           4
        .value_kind:     hidden_block_count_y
      - .offset:         32
        .size:           4
        .value_kind:     hidden_block_count_z
      - .offset:         36
        .size:           2
        .value_kind:     hidden_group_size_x
      - .offset:         38
        .size:           2
        .value_kind:     hidden_group_size_y
      - .offset:         40
        .size:           2
        .value_kind:     hidden_group_size_z
      - .offset:         42
        .size:           2
        .value_kind:     hidden_remainder_x
      - .offset:         44
        .size:           2
        .value_kind:     hidden_remainder_y
      - .offset:         46
        .size:           2
        .value_kind:     hidden_remainder_z
      - .offset:         64
        .size:           8
        .value_kind:     hidden_global_offset_x
      - .offset:         72
        .size:           8
        .value_kind:     hidden_global_offset_y
      - .offset:         80
        .size:           8
        .value_kind:     hidden_global_offset_z
      - .offset:         88
        .size:           2
        .value_kind:     hidden_grid_dims
    .group_segment_fixed_size: 15984
    .kernarg_segment_align: 8
    .kernarg_segment_size: 280
    .language:       OpenCL C
    .language_version:
      - 2
      - 0
    .max_flat_workgroup_size: 1024
    .name:           _Z13lqsort_kernelIfEvPT_S1_P11work_recordIS0_E
    .private_segment_fixed_size: 0
    .sgpr_count:     51
    .sgpr_spill_count: 0
    .symbol:         _Z13lqsort_kernelIfEvPT_S1_P11work_recordIS0_E.kd
    .uniform_work_group_size: 1
    .uses_dynamic_stack: false
    .vgpr_count:     71
    .vgpr_spill_count: 0
    .wavefront_size: 64
  - .agpr_count:     0
    .args:
      - .address_space:  global
        .offset:         0
        .size:           8
        .value_kind:     global_buffer
      - .address_space:  global
        .offset:         8
        .size:           8
        .value_kind:     global_buffer
      - .address_space:  global
        .offset:         16
        .size:           8
        .value_kind:     global_buffer
      - .address_space:  global
        .offset:         24
        .size:           8
        .value_kind:     global_buffer
      - .address_space:  global
        .offset:         32
        .size:           8
        .value_kind:     global_buffer
    .group_segment_fixed_size: 1048
    .kernarg_segment_align: 8
    .kernarg_segment_size: 40
    .language:       OpenCL C
    .language_version:
      - 2
      - 0
    .max_flat_workgroup_size: 1024
    .name:           _Z13gqsort_kernelIdEvPT_S1_P12block_recordIS0_EP13parent_recordP11work_recordIS0_E
    .private_segment_fixed_size: 0
    .sgpr_count:     44
    .sgpr_spill_count: 0
    .symbol:         _Z13gqsort_kernelIdEvPT_S1_P12block_recordIS0_EP13parent_recordP11work_recordIS0_E.kd
    .uniform_work_group_size: 1
    .uses_dynamic_stack: false
    .vgpr_count:     20
    .vgpr_spill_count: 0
    .wavefront_size: 64
  - .agpr_count:     0
    .args:
      - .address_space:  global
        .offset:         0
        .size:           8
        .value_kind:     global_buffer
      - .address_space:  global
        .offset:         8
        .size:           8
        .value_kind:     global_buffer
      - .address_space:  global
        .offset:         16
        .size:           8
        .value_kind:     global_buffer
      - .offset:         24
        .size:           4
        .value_kind:     hidden_block_count_x
      - .offset:         28
        .size:           4
        .value_kind:     hidden_block_count_y
      - .offset:         32
        .size:           4
        .value_kind:     hidden_block_count_z
      - .offset:         36
        .size:           2
        .value_kind:     hidden_group_size_x
      - .offset:         38
        .size:           2
        .value_kind:     hidden_group_size_y
      - .offset:         40
        .size:           2
        .value_kind:     hidden_group_size_z
      - .offset:         42
        .size:           2
        .value_kind:     hidden_remainder_x
      - .offset:         44
        .size:           2
        .value_kind:     hidden_remainder_y
      - .offset:         46
        .size:           2
        .value_kind:     hidden_remainder_z
      - .offset:         64
        .size:           8
        .value_kind:     hidden_global_offset_x
      - .offset:         72
        .size:           8
        .value_kind:     hidden_global_offset_y
      - .offset:         80
        .size:           8
        .value_kind:     hidden_global_offset_z
      - .offset:         88
        .size:           2
        .value_kind:     hidden_grid_dims
    .group_segment_fixed_size: 30832
    .kernarg_segment_align: 8
    .kernarg_segment_size: 280
    .language:       OpenCL C
    .language_version:
      - 2
      - 0
    .max_flat_workgroup_size: 1024
    .name:           _Z13lqsort_kernelIdEvPT_S1_P11work_recordIS0_E
    .private_segment_fixed_size: 0
    .sgpr_count:     46
    .sgpr_spill_count: 0
    .symbol:         _Z13lqsort_kernelIdEvPT_S1_P11work_recordIS0_E.kd
    .uniform_work_group_size: 1
    .uses_dynamic_stack: false
    .vgpr_count:     75
    .vgpr_spill_count: 0
    .wavefront_size: 64
amdhsa.target:   amdgcn-amd-amdhsa--gfx950
amdhsa.version:
  - 1
  - 2
...

	.end_amdgpu_metadata
